;; amdgpu-corpus repo=ROCm/rocFFT kind=compiled arch=gfx1030 opt=O3
	.text
	.amdgcn_target "amdgcn-amd-amdhsa--gfx1030"
	.amdhsa_code_object_version 6
	.protected	fft_rtc_back_len924_factors_2_2_3_7_11_wgs_44_tpt_44_halfLds_dp_op_CI_CI_unitstride_sbrr_dirReg ; -- Begin function fft_rtc_back_len924_factors_2_2_3_7_11_wgs_44_tpt_44_halfLds_dp_op_CI_CI_unitstride_sbrr_dirReg
	.globl	fft_rtc_back_len924_factors_2_2_3_7_11_wgs_44_tpt_44_halfLds_dp_op_CI_CI_unitstride_sbrr_dirReg
	.p2align	8
	.type	fft_rtc_back_len924_factors_2_2_3_7_11_wgs_44_tpt_44_halfLds_dp_op_CI_CI_unitstride_sbrr_dirReg,@function
fft_rtc_back_len924_factors_2_2_3_7_11_wgs_44_tpt_44_halfLds_dp_op_CI_CI_unitstride_sbrr_dirReg: ; @fft_rtc_back_len924_factors_2_2_3_7_11_wgs_44_tpt_44_halfLds_dp_op_CI_CI_unitstride_sbrr_dirReg
; %bb.0:
	s_clause 0x2
	s_load_dwordx4 s[8:11], s[4:5], 0x0
	s_load_dwordx4 s[12:15], s[4:5], 0x58
	;; [unrolled: 1-line block ×3, first 2 shown]
	v_mul_u32_u24_e32 v2, 0x5d2, v0
	v_mov_b32_e32 v1, 0
	s_mov_b64 s[42:43], s[2:3]
	s_mov_b64 s[40:41], s[0:1]
	v_mov_b32_e32 v4, 0
	v_add_nc_u32_sdwa v6, s6, v2 dst_sel:DWORD dst_unused:UNUSED_PAD src0_sel:DWORD src1_sel:WORD_1
	v_mov_b32_e32 v7, v1
	v_mov_b32_e32 v5, 0
	s_add_u32 s40, s40, s7
	s_addc_u32 s41, s41, 0
	s_waitcnt lgkmcnt(0)
	v_cmp_lt_u64_e64 s0, s[10:11], 2
	s_and_b32 vcc_lo, exec_lo, s0
	s_cbranch_vccnz .LBB0_8
; %bb.1:
	s_load_dwordx2 s[0:1], s[4:5], 0x10
	v_mov_b32_e32 v4, 0
	v_mov_b32_e32 v5, 0
	s_add_u32 s2, s18, 8
	s_addc_u32 s3, s19, 0
	s_add_u32 s6, s16, 8
	s_addc_u32 s7, s17, 0
	v_mov_b32_e32 v131, v5
	v_mov_b32_e32 v130, v4
	s_mov_b64 s[22:23], 1
	s_waitcnt lgkmcnt(0)
	s_add_u32 s20, s0, 8
	s_addc_u32 s21, s1, 0
.LBB0_2:                                ; =>This Inner Loop Header: Depth=1
	s_load_dwordx2 s[24:25], s[20:21], 0x0
                                        ; implicit-def: $vgpr132_vgpr133
	s_mov_b32 s0, exec_lo
	s_waitcnt lgkmcnt(0)
	v_or_b32_e32 v2, s25, v7
	v_cmpx_ne_u64_e32 0, v[1:2]
	s_xor_b32 s1, exec_lo, s0
	s_cbranch_execz .LBB0_4
; %bb.3:                                ;   in Loop: Header=BB0_2 Depth=1
	v_cvt_f32_u32_e32 v2, s24
	v_cvt_f32_u32_e32 v3, s25
	s_sub_u32 s0, 0, s24
	s_subb_u32 s26, 0, s25
	v_fmac_f32_e32 v2, 0x4f800000, v3
	v_rcp_f32_e32 v2, v2
	v_mul_f32_e32 v2, 0x5f7ffffc, v2
	v_mul_f32_e32 v3, 0x2f800000, v2
	v_trunc_f32_e32 v3, v3
	v_fmac_f32_e32 v2, 0xcf800000, v3
	v_cvt_u32_f32_e32 v3, v3
	v_cvt_u32_f32_e32 v2, v2
	v_mul_lo_u32 v8, s0, v3
	v_mul_hi_u32 v9, s0, v2
	v_mul_lo_u32 v10, s26, v2
	v_add_nc_u32_e32 v8, v9, v8
	v_mul_lo_u32 v9, s0, v2
	v_add_nc_u32_e32 v8, v8, v10
	v_mul_hi_u32 v10, v2, v9
	v_mul_lo_u32 v11, v2, v8
	v_mul_hi_u32 v12, v2, v8
	v_mul_hi_u32 v13, v3, v9
	v_mul_lo_u32 v9, v3, v9
	v_mul_hi_u32 v14, v3, v8
	v_mul_lo_u32 v8, v3, v8
	v_add_co_u32 v10, vcc_lo, v10, v11
	v_add_co_ci_u32_e32 v11, vcc_lo, 0, v12, vcc_lo
	v_add_co_u32 v9, vcc_lo, v10, v9
	v_add_co_ci_u32_e32 v9, vcc_lo, v11, v13, vcc_lo
	v_add_co_ci_u32_e32 v10, vcc_lo, 0, v14, vcc_lo
	v_add_co_u32 v8, vcc_lo, v9, v8
	v_add_co_ci_u32_e32 v9, vcc_lo, 0, v10, vcc_lo
	v_add_co_u32 v2, vcc_lo, v2, v8
	v_add_co_ci_u32_e32 v3, vcc_lo, v3, v9, vcc_lo
	v_mul_hi_u32 v8, s0, v2
	v_mul_lo_u32 v10, s26, v2
	v_mul_lo_u32 v9, s0, v3
	v_add_nc_u32_e32 v8, v8, v9
	v_mul_lo_u32 v9, s0, v2
	v_add_nc_u32_e32 v8, v8, v10
	v_mul_hi_u32 v10, v2, v9
	v_mul_lo_u32 v11, v2, v8
	v_mul_hi_u32 v12, v2, v8
	v_mul_hi_u32 v13, v3, v9
	v_mul_lo_u32 v9, v3, v9
	v_mul_hi_u32 v14, v3, v8
	v_mul_lo_u32 v8, v3, v8
	v_add_co_u32 v10, vcc_lo, v10, v11
	v_add_co_ci_u32_e32 v11, vcc_lo, 0, v12, vcc_lo
	v_add_co_u32 v9, vcc_lo, v10, v9
	v_add_co_ci_u32_e32 v9, vcc_lo, v11, v13, vcc_lo
	v_add_co_ci_u32_e32 v10, vcc_lo, 0, v14, vcc_lo
	v_add_co_u32 v8, vcc_lo, v9, v8
	v_add_co_ci_u32_e32 v9, vcc_lo, 0, v10, vcc_lo
	v_add_co_u32 v8, vcc_lo, v2, v8
	v_add_co_ci_u32_e32 v10, vcc_lo, v3, v9, vcc_lo
	v_mul_hi_u32 v12, v6, v8
	v_mad_u64_u32 v[8:9], null, v7, v8, 0
	v_mad_u64_u32 v[2:3], null, v6, v10, 0
	;; [unrolled: 1-line block ×3, first 2 shown]
	v_add_co_u32 v2, vcc_lo, v12, v2
	v_add_co_ci_u32_e32 v3, vcc_lo, 0, v3, vcc_lo
	v_add_co_u32 v2, vcc_lo, v2, v8
	v_add_co_ci_u32_e32 v2, vcc_lo, v3, v9, vcc_lo
	v_add_co_ci_u32_e32 v3, vcc_lo, 0, v11, vcc_lo
	v_add_co_u32 v8, vcc_lo, v2, v10
	v_add_co_ci_u32_e32 v9, vcc_lo, 0, v3, vcc_lo
	v_mul_lo_u32 v10, s25, v8
	v_mad_u64_u32 v[2:3], null, s24, v8, 0
	v_mul_lo_u32 v11, s24, v9
	v_sub_co_u32 v2, vcc_lo, v6, v2
	v_add3_u32 v3, v3, v11, v10
	v_sub_nc_u32_e32 v10, v7, v3
	v_subrev_co_ci_u32_e64 v10, s0, s25, v10, vcc_lo
	v_add_co_u32 v11, s0, v8, 2
	v_add_co_ci_u32_e64 v12, s0, 0, v9, s0
	v_sub_co_u32 v13, s0, v2, s24
	v_sub_co_ci_u32_e32 v3, vcc_lo, v7, v3, vcc_lo
	v_subrev_co_ci_u32_e64 v10, s0, 0, v10, s0
	v_cmp_le_u32_e32 vcc_lo, s24, v13
	v_cmp_eq_u32_e64 s0, s25, v3
	v_cndmask_b32_e64 v13, 0, -1, vcc_lo
	v_cmp_le_u32_e32 vcc_lo, s25, v10
	v_cndmask_b32_e64 v14, 0, -1, vcc_lo
	v_cmp_le_u32_e32 vcc_lo, s24, v2
	;; [unrolled: 2-line block ×3, first 2 shown]
	v_cndmask_b32_e64 v15, 0, -1, vcc_lo
	v_cmp_eq_u32_e32 vcc_lo, s25, v10
	v_cndmask_b32_e64 v2, v15, v2, s0
	v_cndmask_b32_e32 v10, v14, v13, vcc_lo
	v_add_co_u32 v13, vcc_lo, v8, 1
	v_add_co_ci_u32_e32 v14, vcc_lo, 0, v9, vcc_lo
	v_cmp_ne_u32_e32 vcc_lo, 0, v10
	v_cndmask_b32_e32 v3, v14, v12, vcc_lo
	v_cndmask_b32_e32 v10, v13, v11, vcc_lo
	v_cmp_ne_u32_e32 vcc_lo, 0, v2
	v_cndmask_b32_e32 v133, v9, v3, vcc_lo
	v_cndmask_b32_e32 v132, v8, v10, vcc_lo
.LBB0_4:                                ;   in Loop: Header=BB0_2 Depth=1
	s_andn2_saveexec_b32 s0, s1
	s_cbranch_execz .LBB0_6
; %bb.5:                                ;   in Loop: Header=BB0_2 Depth=1
	v_cvt_f32_u32_e32 v2, s24
	s_sub_i32 s1, 0, s24
	v_mov_b32_e32 v133, v1
	v_rcp_iflag_f32_e32 v2, v2
	v_mul_f32_e32 v2, 0x4f7ffffe, v2
	v_cvt_u32_f32_e32 v2, v2
	v_mul_lo_u32 v3, s1, v2
	v_mul_hi_u32 v3, v2, v3
	v_add_nc_u32_e32 v2, v2, v3
	v_mul_hi_u32 v2, v6, v2
	v_mul_lo_u32 v3, v2, s24
	v_add_nc_u32_e32 v8, 1, v2
	v_sub_nc_u32_e32 v3, v6, v3
	v_subrev_nc_u32_e32 v9, s24, v3
	v_cmp_le_u32_e32 vcc_lo, s24, v3
	v_cndmask_b32_e32 v3, v3, v9, vcc_lo
	v_cndmask_b32_e32 v2, v2, v8, vcc_lo
	v_cmp_le_u32_e32 vcc_lo, s24, v3
	v_add_nc_u32_e32 v8, 1, v2
	v_cndmask_b32_e32 v132, v2, v8, vcc_lo
.LBB0_6:                                ;   in Loop: Header=BB0_2 Depth=1
	s_or_b32 exec_lo, exec_lo, s0
	v_mul_lo_u32 v8, v133, s24
	v_mul_lo_u32 v9, v132, s25
	s_load_dwordx2 s[0:1], s[6:7], 0x0
	v_mad_u64_u32 v[2:3], null, v132, s24, 0
	s_load_dwordx2 s[24:25], s[2:3], 0x0
	s_add_u32 s22, s22, 1
	s_addc_u32 s23, s23, 0
	s_add_u32 s2, s2, 8
	s_addc_u32 s3, s3, 0
	s_add_u32 s6, s6, 8
	v_add3_u32 v3, v3, v9, v8
	v_sub_co_u32 v2, vcc_lo, v6, v2
	s_addc_u32 s7, s7, 0
	s_add_u32 s20, s20, 8
	v_sub_co_ci_u32_e32 v3, vcc_lo, v7, v3, vcc_lo
	s_addc_u32 s21, s21, 0
	s_waitcnt lgkmcnt(0)
	v_mul_lo_u32 v6, s0, v3
	v_mul_lo_u32 v7, s1, v2
	v_mad_u64_u32 v[4:5], null, s0, v2, v[4:5]
	v_mul_lo_u32 v3, s24, v3
	v_mul_lo_u32 v8, s25, v2
	v_mad_u64_u32 v[130:131], null, s24, v2, v[130:131]
	v_cmp_ge_u64_e64 s0, s[22:23], s[10:11]
	v_add3_u32 v5, v7, v5, v6
	v_add3_u32 v131, v8, v131, v3
	s_and_b32 vcc_lo, exec_lo, s0
	s_cbranch_vccnz .LBB0_9
; %bb.7:                                ;   in Loop: Header=BB0_2 Depth=1
	v_mov_b32_e32 v6, v132
	v_mov_b32_e32 v7, v133
	s_branch .LBB0_2
.LBB0_8:
	v_mov_b32_e32 v131, v5
	v_mov_b32_e32 v133, v7
	;; [unrolled: 1-line block ×4, first 2 shown]
.LBB0_9:
	s_load_dwordx2 s[0:1], s[4:5], 0x28
	v_mul_hi_u32 v1, 0x5d1745e, v0
	s_lshl_b64 s[4:5], s[10:11], 3
                                        ; implicit-def: $vgpr134
	s_add_u32 s2, s18, s4
	s_addc_u32 s3, s19, s5
	s_waitcnt lgkmcnt(0)
	v_cmp_gt_u64_e32 vcc_lo, s[0:1], v[132:133]
	v_cmp_le_u64_e64 s0, s[0:1], v[132:133]
	s_and_saveexec_b32 s1, s0
	s_xor_b32 s0, exec_lo, s1
; %bb.10:
	v_mul_u32_u24_e32 v1, 44, v1
                                        ; implicit-def: $vgpr4_vgpr5
	v_sub_nc_u32_e32 v134, v0, v1
                                        ; implicit-def: $vgpr1
                                        ; implicit-def: $vgpr0
; %bb.11:
	s_or_saveexec_b32 s1, s0
	s_load_dwordx2 s[2:3], s[2:3], 0x0
                                        ; implicit-def: $vgpr62_vgpr63
                                        ; implicit-def: $vgpr34_vgpr35
                                        ; implicit-def: $vgpr30_vgpr31
                                        ; implicit-def: $vgpr22_vgpr23
                                        ; implicit-def: $vgpr38_vgpr39
                                        ; implicit-def: $vgpr2_vgpr3
                                        ; implicit-def: $vgpr54_vgpr55
                                        ; implicit-def: $vgpr6_vgpr7
                                        ; implicit-def: $vgpr58_vgpr59
                                        ; implicit-def: $vgpr14_vgpr15
                                        ; implicit-def: $vgpr66_vgpr67
                                        ; implicit-def: $vgpr10_vgpr11
                                        ; implicit-def: $vgpr70_vgpr71
                                        ; implicit-def: $vgpr18_vgpr19
                                        ; implicit-def: $vgpr74_vgpr75
                                        ; implicit-def: $vgpr26_vgpr27
                                        ; implicit-def: $vgpr78_vgpr79
                                        ; implicit-def: $vgpr46_vgpr47
                                        ; implicit-def: $vgpr84_vgpr85
                                        ; implicit-def: $vgpr42_vgpr43
                                        ; implicit-def: $vgpr88_vgpr89
                                        ; implicit-def: $vgpr50_vgpr51
	s_xor_b32 exec_lo, exec_lo, s1
	s_cbranch_execz .LBB0_15
; %bb.12:
	s_add_u32 s4, s16, s4
	s_addc_u32 s5, s17, s5
                                        ; implicit-def: $vgpr32_vgpr33
                                        ; implicit-def: $vgpr60_vgpr61
	s_load_dwordx2 s[4:5], s[4:5], 0x0
	s_waitcnt lgkmcnt(0)
	v_mul_lo_u32 v6, s5, v132
	v_mul_lo_u32 v7, s4, v133
	v_mad_u64_u32 v[2:3], null, s4, v132, 0
	s_mov_b32 s4, exec_lo
	v_add3_u32 v3, v3, v7, v6
	v_mul_u32_u24_e32 v6, 44, v1
	v_lshlrev_b64 v[1:2], 4, v[2:3]
	v_lshlrev_b64 v[3:4], 4, v[4:5]
	v_sub_nc_u32_e32 v134, v0, v6
	v_add_co_u32 v0, s0, s12, v1
	v_add_co_ci_u32_e64 v1, s0, s13, v2, s0
	v_lshlrev_b32_e32 v2, 4, v134
	v_add_co_u32 v0, s0, v0, v3
	v_add_co_ci_u32_e64 v1, s0, v1, v4, s0
	v_add_co_u32 v34, s0, v0, v2
	v_add_co_ci_u32_e64 v35, s0, 0, v1, s0
	;; [unrolled: 2-line block ×8, first 2 shown]
	s_clause 0x13
	global_load_dwordx4 v[76:79], v[0:1], off offset:608
	global_load_dwordx4 v[72:75], v[0:1], off offset:1312
	;; [unrolled: 1-line block ×14, first 2 shown]
	global_load_dwordx4 v[48:51], v[34:35], off
	global_load_dwordx4 v[40:43], v[34:35], off offset:704
	global_load_dwordx4 v[86:89], v[62:63], off offset:1248
	;; [unrolled: 1-line block ×5, first 2 shown]
	v_cmpx_gt_u32_e32 22, v134
; %bb.13:
	v_add_co_u32 v60, s0, 0x3800, v34
	v_add_co_ci_u32_e64 v61, s0, 0, v35, s0
	s_clause 0x1
	global_load_dwordx4 v[32:35], v[62:63], off offset:896
	global_load_dwordx4 v[60:63], v[60:61], off offset:96
; %bb.14:
	s_or_b32 exec_lo, exec_lo, s4
.LBB0_15:
	s_or_b32 exec_lo, exec_lo, s1
	s_waitcnt vmcnt(3)
	v_add_f64 v[92:93], v[48:49], -v[86:87]
	s_waitcnt vmcnt(2)
	v_add_f64 v[96:97], v[40:41], -v[82:83]
	v_add_f64 v[116:117], v[12:13], -v[56:57]
	s_waitcnt vmcnt(0)
	v_add_f64 v[82:83], v[32:33], -v[60:61]
	v_add_f64 v[120:121], v[4:5], -v[52:53]
	v_add_f64 v[100:101], v[44:45], -v[76:77]
	v_add_f64 v[124:125], v[0:1], -v[36:37]
	v_add_f64 v[104:105], v[24:25], -v[72:73]
	v_add_f64 v[128:129], v[20:21], -v[28:29]
	v_add_f64 v[108:109], v[16:17], -v[68:69]
	v_add_f64 v[112:113], v[8:9], -v[64:65]
	v_add_nc_u32_e32 v135, 44, v134
	v_add_nc_u32_e32 v137, 0x58, v134
	;; [unrolled: 1-line block ×6, first 2 shown]
	v_lshl_add_u32 v28, v134, 4, 0
	v_cmp_gt_u32_e64 s0, 22, v134
	v_fma_f64 v[90:91], v[48:49], 2.0, -v[92:93]
	v_fma_f64 v[94:95], v[40:41], 2.0, -v[96:97]
	;; [unrolled: 1-line block ×11, first 2 shown]
	v_add_nc_u32_e32 v17, 0x134, v134
	v_add_nc_u32_e32 v48, 0x160, v134
	;; [unrolled: 1-line block ×4, first 2 shown]
	v_lshl_add_u32 v25, v135, 4, 0
	v_lshl_add_u32 v24, v137, 4, 0
	;; [unrolled: 1-line block ×10, first 2 shown]
	ds_write_b128 v28, v[90:93]
	ds_write_b128 v25, v[94:97]
	;; [unrolled: 1-line block ×10, first 2 shown]
	s_and_saveexec_b32 s1, s0
	s_cbranch_execz .LBB0_17
; %bb.16:
	ds_write_b128 v0, v[80:83]
.LBB0_17:
	s_or_b32 exec_lo, exec_lo, s1
	v_lshl_add_u32 v136, v134, 3, 0
	s_waitcnt lgkmcnt(0)
	s_barrier
	buffer_gl0_inv
	ds_read2_b64 v[114:117], v136 offset1:44
	ds_read2_b64 v[110:113], v136 offset0:88 offset1:132
	v_add_nc_u32_e32 v20, 0x800, v136
	v_add_nc_u32_e32 v21, 0x1000, v136
	;; [unrolled: 1-line block ×4, first 2 shown]
	ds_read2_b64 v[106:109], v20 offset0:206 offset1:250
	ds_read2_b64 v[98:101], v21 offset0:38 offset1:82
	;; [unrolled: 1-line block ×8, first 2 shown]
	s_and_saveexec_b32 s1, s0
	s_cbranch_execz .LBB0_19
; %bb.18:
	ds_read_b64 v[80:81], v136 offset:3520
	ds_read_b64 v[82:83], v136 offset:7216
.LBB0_19:
	s_or_b32 exec_lo, exec_lo, s1
	v_add_f64 v[32:33], v[50:51], -v[88:89]
	v_add_f64 v[56:57], v[18:19], -v[70:71]
	;; [unrolled: 1-line block ×11, first 2 shown]
	s_waitcnt lgkmcnt(0)
	s_barrier
	buffer_gl0_inv
	v_fma_f64 v[30:31], v[50:51], 2.0, -v[32:33]
	v_fma_f64 v[54:55], v[18:19], 2.0, -v[56:57]
	;; [unrolled: 1-line block ×11, first 2 shown]
	ds_write_b128 v28, v[30:33]
	ds_write_b128 v25, v[38:41]
	;; [unrolled: 1-line block ×10, first 2 shown]
	s_and_saveexec_b32 s1, s0
	s_cbranch_execz .LBB0_21
; %bb.20:
	ds_write_b128 v0, v[18:21]
.LBB0_21:
	s_or_b32 exec_lo, exec_lo, s1
	v_add_nc_u32_e32 v5, 0x1000, v136
	v_add_nc_u32_e32 v4, 0x800, v136
	;; [unrolled: 1-line block ×4, first 2 shown]
	s_waitcnt lgkmcnt(0)
	s_barrier
	buffer_gl0_inv
	ds_read2_b64 v[22:25], v136 offset1:44
	ds_read2_b64 v[0:3], v4 offset0:206 offset1:250
	ds_read2_b64 v[36:39], v136 offset0:88 offset1:132
	;; [unrolled: 1-line block ×9, first 2 shown]
	v_lshlrev_b32_e32 v55, 1, v134
	v_lshlrev_b32_e32 v34, 1, v135
	;; [unrolled: 1-line block ×10, first 2 shown]
	s_and_saveexec_b32 s1, s0
	s_cbranch_execz .LBB0_23
; %bb.22:
	ds_read_b64 v[18:19], v136 offset:3520
	ds_read_b64 v[20:21], v136 offset:7216
.LBB0_23:
	s_or_b32 exec_lo, exec_lo, s1
	v_and_b32_e32 v17, 1, v134
	v_lshlrev_b32_e32 v16, 1, v16
	v_lshlrev_b32_e32 v4, 4, v17
	v_and_or_b32 v151, 0x3fc, v49, v17
	v_and_or_b32 v150, 0x7c, v55, v17
	global_load_dwordx4 v[4:7], v4, s[8:9]
	s_waitcnt vmcnt(0) lgkmcnt(0)
	s_barrier
	buffer_gl0_inv
	v_mul_f64 v[60:61], v[0:1], v[6:7]
	v_mul_f64 v[62:63], v[2:3], v[6:7]
	v_mul_f64 v[64:65], v[8:9], v[6:7]
	v_mul_f64 v[66:67], v[10:11], v[6:7]
	v_mul_f64 v[68:69], v[12:13], v[6:7]
	v_mul_f64 v[70:71], v[14:15], v[6:7]
	v_mul_f64 v[72:73], v[26:27], v[6:7]
	v_mul_f64 v[74:75], v[28:29], v[6:7]
	v_mul_f64 v[76:77], v[30:31], v[6:7]
	v_mul_f64 v[78:79], v[32:33], v[6:7]
	v_mul_f64 v[84:85], v[20:21], v[6:7]
	v_fma_f64 v[60:61], v[106:107], v[4:5], v[60:61]
	v_fma_f64 v[62:63], v[108:109], v[4:5], v[62:63]
	v_fma_f64 v[64:65], v[98:99], v[4:5], v[64:65]
	v_fma_f64 v[66:67], v[100:101], v[4:5], v[66:67]
	v_fma_f64 v[68:69], v[102:103], v[4:5], v[68:69]
	v_fma_f64 v[70:71], v[104:105], v[4:5], v[70:71]
	v_fma_f64 v[72:73], v[94:95], v[4:5], v[72:73]
	v_fma_f64 v[74:75], v[96:97], v[4:5], v[74:75]
	v_fma_f64 v[76:77], v[90:91], v[4:5], v[76:77]
	v_fma_f64 v[78:79], v[92:93], v[4:5], v[78:79]
	v_add_f64 v[86:87], v[114:115], -v[60:61]
	v_fma_f64 v[60:61], v[82:83], v[4:5], v[84:85]
	v_add_f64 v[142:143], v[116:117], -v[62:63]
	v_add_f64 v[144:145], v[110:111], -v[64:65]
	;; [unrolled: 1-line block ×9, first 2 shown]
	v_and_or_b32 v62, 0xfc, v34, v17
	v_and_or_b32 v63, 0x1fc, v35, v17
	v_and_or_b32 v69, 0x3fc, v48, v17
	v_and_or_b32 v64, 0x1fc, v50, v17
	v_and_or_b32 v65, 0x1fc, v51, v17
	v_and_or_b32 v66, 0x3fc, v52, v17
	v_and_or_b32 v67, 0x2fc, v53, v17
	v_and_or_b32 v68, 0x2fc, v54, v17
	v_fma_f64 v[34:35], v[114:115], 2.0, -v[86:87]
	v_add_f64 v[88:89], v[80:81], -v[60:61]
	v_fma_f64 v[48:49], v[116:117], 2.0, -v[142:143]
	v_fma_f64 v[50:51], v[110:111], 2.0, -v[144:145]
	;; [unrolled: 1-line block ×9, first 2 shown]
	v_lshl_add_u32 v60, v150, 3, 0
	v_lshl_add_u32 v61, v62, 3, 0
	;; [unrolled: 1-line block ×10, first 2 shown]
	ds_write2_b64 v60, v[34:35], v[86:87] offset1:2
	ds_write2_b64 v61, v[48:49], v[142:143] offset1:2
	;; [unrolled: 1-line block ×10, first 2 shown]
	s_and_saveexec_b32 s1, s0
	s_cbranch_execz .LBB0_25
; %bb.24:
	v_fma_f64 v[34:35], v[80:81], 2.0, -v[88:89]
	v_and_or_b32 v48, 0x3fc, v16, v17
	v_lshl_add_u32 v48, v48, 3, 0
	ds_write2_b64 v48, v[34:35], v[88:89] offset1:2
.LBB0_25:
	s_or_b32 exec_lo, exec_lo, s1
	v_mul_f64 v[34:35], v[106:107], v[6:7]
	v_mul_f64 v[48:49], v[108:109], v[6:7]
	;; [unrolled: 1-line block ×11, first 2 shown]
	v_add_nc_u32_e32 v96, 0x800, v136
	v_add_nc_u32_e32 v97, 0x1000, v136
	;; [unrolled: 1-line block ×3, first 2 shown]
	s_waitcnt lgkmcnt(0)
	s_barrier
	buffer_gl0_inv
	v_fma_f64 v[34:35], v[0:1], v[4:5], -v[34:35]
	v_fma_f64 v[48:49], v[2:3], v[4:5], -v[48:49]
	;; [unrolled: 1-line block ×11, first 2 shown]
	ds_read2_b64 v[0:3], v136 offset1:44
	v_add_f64 v[70:71], v[22:23], -v[34:35]
	v_add_f64 v[72:73], v[24:25], -v[48:49]
	;; [unrolled: 1-line block ×10, first 2 shown]
	ds_read2_b64 v[12:15], v136 offset0:88 offset1:132
	ds_read2_b64 v[4:7], v136 offset0:176 offset1:220
	ds_read_b64 v[92:93], v136 offset:7040
	ds_read2_b64 v[8:11], v96 offset0:8 offset1:52
	ds_read2_b64 v[52:55], v97 offset0:104 offset1:148
	;; [unrolled: 1-line block ×5, first 2 shown]
	v_add_f64 v[90:91], v[18:19], -v[20:21]
	v_fma_f64 v[22:23], v[22:23], 2.0, -v[70:71]
	v_fma_f64 v[24:25], v[24:25], 2.0, -v[72:73]
	;; [unrolled: 1-line block ×6, first 2 shown]
	ds_read2_b64 v[40:43], v98 offset0:24 offset1:68
	ds_read2_b64 v[36:39], v97 offset0:16 offset1:60
	v_fma_f64 v[44:45], v[44:45], 2.0, -v[26:27]
	v_fma_f64 v[46:47], v[46:47], 2.0, -v[82:83]
	;; [unrolled: 1-line block ×4, first 2 shown]
	s_waitcnt lgkmcnt(0)
	s_barrier
	buffer_gl0_inv
	ds_write2_b64 v60, v[22:23], v[70:71] offset1:2
	ds_write2_b64 v61, v[24:25], v[72:73] offset1:2
	;; [unrolled: 1-line block ×10, first 2 shown]
	s_and_saveexec_b32 s1, s0
	s_cbranch_execz .LBB0_27
; %bb.26:
	v_fma_f64 v[18:19], v[18:19], 2.0, -v[90:91]
	v_and_or_b32 v16, 0x3fc, v16, v17
	v_lshl_add_u32 v16, v16, 3, 0
	ds_write2_b64 v16, v[18:19], v[90:91] offset1:2
.LBB0_27:
	s_or_b32 exec_lo, exec_lo, s1
	v_and_b32_e32 v99, 3, v134
	s_waitcnt lgkmcnt(0)
	s_barrier
	buffer_gl0_inv
	v_and_b32_e32 v108, 0xff, v134
	v_lshlrev_b32_e32 v16, 5, v99
	v_and_b32_e32 v109, 0xff, v135
	v_lshrrev_b32_e32 v101, 2, v134
	v_lshrrev_b32_e32 v102, 2, v135
	;; [unrolled: 1-line block ×3, first 2 shown]
	s_clause 0x1
	global_load_dwordx4 v[56:59], v16, s[8:9] offset:48
	global_load_dwordx4 v[60:63], v16, s[8:9] offset:32
	v_lshrrev_b32_e32 v104, 2, v141
	v_lshrrev_b32_e32 v105, 2, v140
	v_lshrrev_b32_e32 v106, 2, v138
	v_lshrrev_b32_e32 v107, 2, v139
	v_mul_lo_u16 v108, 0xab, v108
	v_mul_lo_u16 v109, 0xab, v109
	v_and_b32_e32 v110, 0xff, v137
	v_mul_u32_u24_e32 v101, 12, v101
	v_mul_u32_u24_e32 v102, 12, v102
	v_mul_u32_u24_e32 v103, 12, v103
	v_mul_u32_u24_e32 v104, 12, v104
	v_mul_u32_u24_e32 v105, 12, v105
	v_mul_u32_u24_e32 v106, 12, v106
	v_mul_u32_u24_e32 v107, 12, v107
	v_lshrrev_b16 v129, 11, v108
	v_lshrrev_b16 v126, 11, v109
	v_mul_lo_u16 v110, 0xab, v110
	v_or_b32_e32 v101, v101, v99
	v_or_b32_e32 v102, v102, v99
	;; [unrolled: 1-line block ×7, first 2 shown]
	v_mul_lo_u16 v107, v129, 12
	ds_read2_b64 v[44:47], v136 offset1:44
	ds_read2_b64 v[16:19], v96 offset0:8 offset1:52
	ds_read2_b64 v[84:87], v97 offset0:104 offset1:148
	;; [unrolled: 1-line block ×9, first 2 shown]
	ds_read_b64 v[94:95], v136 offset:7040
	v_mul_lo_u16 v108, v126, 12
	v_mov_b32_e32 v100, 6
	v_lshrrev_b16 v125, 11, v110
	v_sub_nc_u16 v127, v134, v107
	v_lshl_add_u32 v123, v101, 3, 0
	v_sub_nc_u16 v128, v135, v108
	v_lshl_add_u32 v167, v102, 3, 0
	v_mul_lo_u16 v101, v125, 12
	v_mul_u32_u24_sdwa v102, v127, v100 dst_sel:DWORD dst_unused:UNUSED_PAD src0_sel:BYTE_0 src1_sel:DWORD
	v_lshl_add_u32 v168, v103, 3, 0
	v_mul_u32_u24_sdwa v103, v128, v100 dst_sel:DWORD dst_unused:UNUSED_PAD src0_sel:BYTE_0 src1_sel:DWORD
	v_lshl_add_u32 v170, v105, 3, 0
	v_lshl_add_u32 v171, v106, 3, 0
	v_sub_nc_u16 v124, v137, v101
	v_lshlrev_b32_e32 v172, 4, v102
	v_lshl_add_u32 v169, v104, 3, 0
	v_lshlrev_b32_e32 v173, 4, v103
	s_mov_b32 s0, 0xe8584caa
	s_mov_b32 s1, 0xbfebb67a
	;; [unrolled: 1-line block ×4, first 2 shown]
	s_waitcnt vmcnt(0) lgkmcnt(0)
	s_barrier
	buffer_gl0_inv
	v_lshl_add_u32 v99, v99, 3, 0
	s_mov_b32 s10, 0x37e14327
	s_mov_b32 s6, 0x36b3c0b5
	;; [unrolled: 1-line block ×17, first 2 shown]
	v_mul_f64 v[101:102], v[84:85], v[58:59]
	v_mul_f64 v[105:106], v[52:53], v[58:59]
	;; [unrolled: 1-line block ×28, first 2 shown]
	v_fma_f64 v[52:53], v[52:53], v[56:57], v[101:102]
	v_fma_f64 v[84:85], v[84:85], v[56:57], -v[105:106]
	v_fma_f64 v[10:11], v[10:11], v[60:61], v[117:118]
	v_fma_f64 v[18:19], v[18:19], v[60:61], -v[137:138]
	;; [unrolled: 2-line block ×7, first 2 shown]
	v_fma_f64 v[28:29], v[28:29], v[60:61], v[141:142]
	v_fma_f64 v[30:31], v[30:31], v[60:61], v[147:148]
	v_fma_f64 v[72:73], v[72:73], v[60:61], -v[145:146]
	v_fma_f64 v[74:75], v[74:75], v[60:61], -v[149:150]
	v_fma_f64 v[40:41], v[40:41], v[56:57], v[151:152]
	v_fma_f64 v[36:37], v[36:37], v[60:61], v[155:156]
	v_fma_f64 v[64:65], v[64:65], v[60:61], -v[157:158]
	v_fma_f64 v[42:43], v[42:43], v[56:57], v[159:160]
	v_fma_f64 v[38:39], v[38:39], v[60:61], v[163:164]
	v_fma_f64 v[60:61], v[66:67], v[60:61], -v[62:63]
	v_fma_f64 v[62:63], v[92:93], v[56:57], v[165:166]
	v_fma_f64 v[68:69], v[68:69], v[56:57], -v[153:154]
	v_fma_f64 v[70:71], v[70:71], v[56:57], -v[161:162]
	;; [unrolled: 1-line block ×3, first 2 shown]
	v_add_f64 v[66:67], v[10:11], v[52:53]
	v_add_f64 v[92:93], v[18:19], -v[84:85]
	v_add_f64 v[101:102], v[44:45], v[18:19]
	v_add_f64 v[18:19], v[18:19], v[84:85]
	;; [unrolled: 1-line block ×5, first 2 shown]
	v_add_f64 v[115:116], v[82:83], -v[76:77]
	v_add_f64 v[117:118], v[24:25], v[82:83]
	v_add_f64 v[82:83], v[82:83], v[76:77]
	;; [unrolled: 1-line block ×3, first 2 shown]
	v_add_f64 v[121:122], v[72:73], -v[78:79]
	v_add_f64 v[137:138], v[26:27], v[72:73]
	v_add_f64 v[72:73], v[72:73], v[78:79]
	;; [unrolled: 1-line block ×5, first 2 shown]
	v_add_f64 v[10:11], v[10:11], -v[52:53]
	v_add_f64 v[157:158], v[38:39], v[62:63]
	v_add_f64 v[145:146], v[74:75], v[68:69]
	;; [unrolled: 1-line block ×7, first 2 shown]
	v_fma_f64 v[0:1], v[66:67], -0.5, v[0:1]
	v_fma_f64 v[18:19], v[18:19], -0.5, v[44:45]
	v_add_f64 v[107:108], v[80:81], -v[86:87]
	v_add_f64 v[80:81], v[46:47], v[80:81]
	v_add_f64 v[48:49], v[48:49], -v[54:55]
	v_fma_f64 v[2:3], v[94:95], -0.5, v[2:3]
	v_fma_f64 v[44:45], v[103:104], -0.5, v[46:47]
	v_add_f64 v[113:114], v[12:13], v[50:51]
	v_add_f64 v[50:51], v[50:51], -v[32:33]
	v_fma_f64 v[12:13], v[109:110], -0.5, v[12:13]
	v_fma_f64 v[24:25], v[82:83], -0.5, v[24:25]
	v_add_f64 v[119:120], v[14:15], v[28:29]
	v_add_f64 v[28:29], v[28:29], -v[34:35]
	v_add_f64 v[139:140], v[4:5], v[30:31]
	v_add_f64 v[143:144], v[20:21], v[74:75]
	;; [unrolled: 1-line block ×4, first 2 shown]
	v_add_f64 v[74:75], v[74:75], -v[68:69]
	v_add_f64 v[64:65], v[64:65], -v[70:71]
	;; [unrolled: 1-line block ×3, first 2 shown]
	v_fma_f64 v[14:15], v[111:112], -0.5, v[14:15]
	v_fma_f64 v[26:27], v[72:73], -0.5, v[26:27]
	;; [unrolled: 1-line block ×5, first 2 shown]
	v_add_f64 v[30:31], v[30:31], -v[40:41]
	v_fma_f64 v[20:21], v[145:146], -0.5, v[20:21]
	v_add_f64 v[36:37], v[36:37], -v[42:43]
	v_fma_f64 v[22:23], v[153:154], -0.5, v[22:23]
	v_add_f64 v[38:39], v[38:39], -v[62:63]
	v_fma_f64 v[16:17], v[161:162], -0.5, v[16:17]
	v_add_f64 v[46:47], v[58:59], v[52:53]
	v_add_f64 v[58:59], v[101:102], v[84:85]
	;; [unrolled: 1-line block ×5, first 2 shown]
	v_fma_f64 v[56:57], v[92:93], s[0:1], v[0:1]
	v_fma_f64 v[72:73], v[10:11], s[4:5], v[18:19]
	v_add_f64 v[66:67], v[80:81], v[86:87]
	v_fma_f64 v[0:1], v[92:93], s[4:5], v[0:1]
	v_fma_f64 v[80:81], v[10:11], s[0:1], v[18:19]
	;; [unrolled: 1-line block ×6, first 2 shown]
	v_add_f64 v[32:33], v[113:114], v[32:33]
	v_add_f64 v[76:77], v[117:118], v[76:77]
	v_fma_f64 v[18:19], v[115:116], s[0:1], v[12:13]
	v_fma_f64 v[84:85], v[50:51], s[4:5], v[24:25]
	;; [unrolled: 1-line block ×4, first 2 shown]
	v_add_f64 v[34:35], v[119:120], v[34:35]
	v_add_f64 v[78:79], v[137:138], v[78:79]
	v_fma_f64 v[48:49], v[121:122], s[0:1], v[14:15]
	v_fma_f64 v[50:51], v[74:75], s[0:1], v[4:5]
	v_fma_f64 v[4:5], v[74:75], s[4:5], v[4:5]
	v_fma_f64 v[74:75], v[64:65], s[0:1], v[6:7]
	v_fma_f64 v[6:7], v[64:65], s[4:5], v[6:7]
	v_fma_f64 v[64:65], v[60:61], s[0:1], v[8:9]
	v_fma_f64 v[8:9], v[60:61], s[4:5], v[8:9]
	v_fma_f64 v[60:61], v[28:29], s[4:5], v[26:27]
	v_fma_f64 v[14:15], v[121:122], s[4:5], v[14:15]
	v_fma_f64 v[26:27], v[28:29], s[0:1], v[26:27]
	v_add_f64 v[40:41], v[139:140], v[40:41]
	v_add_f64 v[68:69], v[143:144], v[68:69]
	v_fma_f64 v[28:29], v[30:31], s[4:5], v[20:21]
	v_fma_f64 v[30:31], v[30:31], s[0:1], v[20:21]
	v_add_f64 v[42:43], v[147:148], v[42:43]
	v_add_f64 v[70:71], v[151:152], v[70:71]
	v_fma_f64 v[86:87], v[36:37], s[4:5], v[22:23]
	v_fma_f64 v[36:37], v[36:37], s[0:1], v[22:23]
	;; [unrolled: 1-line block ×4, first 2 shown]
	ds_write2_b64 v123, v[46:47], v[56:57] offset1:4
	ds_write_b64 v123, v[0:1] offset:64
	ds_write2_b64 v167, v[52:53], v[10:11] offset1:4
	ds_write_b64 v167, v[2:3] offset:64
	;; [unrolled: 2-line block ×7, first 2 shown]
	s_waitcnt lgkmcnt(0)
	s_barrier
	buffer_gl0_inv
	ds_read2_b64 v[4:7], v136 offset1:44
	ds_read2_b64 v[0:3], v136 offset0:88 offset1:132
	ds_read2_b64 v[8:11], v96 offset0:8 offset1:52
	;; [unrolled: 1-line block ×9, first 2 shown]
	ds_read_b64 v[177:178], v136 offset:7040
	s_waitcnt lgkmcnt(0)
	s_barrier
	buffer_gl0_inv
	ds_write2_b64 v123, v[58:59], v[72:73] offset1:4
	ds_write_b64 v123, v[80:81] offset:64
	ds_write2_b64 v167, v[66:67], v[82:83] offset1:4
	ds_write_b64 v167, v[44:45] offset:64
	;; [unrolled: 2-line block ×7, first 2 shown]
	v_mul_u32_u24_sdwa v24, v124, v100 dst_sel:DWORD dst_unused:UNUSED_PAD src0_sel:BYTE_0 src1_sel:DWORD
	s_waitcnt lgkmcnt(0)
	s_barrier
	buffer_gl0_inv
	s_clause 0x4
	global_load_dwordx4 v[28:31], v172, s[8:9] offset:176
	global_load_dwordx4 v[32:35], v173, s[8:9] offset:176
	;; [unrolled: 1-line block ×5, first 2 shown]
	v_lshlrev_b32_e32 v24, 4, v24
	s_clause 0xc
	global_load_dwordx4 v[68:71], v173, s[8:9] offset:240
	global_load_dwordx4 v[80:83], v173, s[8:9] offset:160
	global_load_dwordx4 v[104:107], v24, s[8:9] offset:160
	global_load_dwordx4 v[84:87], v172, s[8:9] offset:192
	global_load_dwordx4 v[92:95], v24, s[8:9] offset:176
	global_load_dwordx4 v[99:102], v172, s[8:9] offset:160
	global_load_dwordx4 v[114:117], v172, s[8:9] offset:224
	global_load_dwordx4 v[137:140], v173, s[8:9] offset:224
	global_load_dwordx4 v[141:144], v173, s[8:9] offset:192
	global_load_dwordx4 v[145:148], v24, s[8:9] offset:224
	global_load_dwordx4 v[149:152], v24, s[8:9] offset:240
	global_load_dwordx4 v[153:156], v24, s[8:9] offset:192
	global_load_dwordx4 v[157:160], v24, s[8:9] offset:208
	ds_read2_b64 v[72:75], v96 offset0:8 offset1:52
	ds_read2_b64 v[76:79], v97 offset0:16 offset1:60
	;; [unrolled: 1-line block ×8, first 2 shown]
	ds_read_b64 v[179:180], v136 offset:7040
	ds_read2_b64 v[173:176], v96 offset0:184 offset1:228
	s_mov_b32 s4, 0x5476071b
	s_mov_b32 s5, 0x3fe77f67
	;; [unrolled: 1-line block ×3, first 2 shown]
	v_cmp_gt_u32_e64 s0, 40, v134
	s_waitcnt vmcnt(12)
	v_mul_f64 v[187:188], v[40:41], v[70:71]
	s_waitcnt vmcnt(11) lgkmcnt(6)
	v_mul_f64 v[189:190], v[161:162], v[82:83]
	s_waitcnt vmcnt(10)
	v_mul_f64 v[191:192], v[163:164], v[106:107]
	v_mul_f64 v[82:83], v[46:47], v[82:83]
	s_waitcnt vmcnt(8) lgkmcnt(5)
	v_mul_f64 v[195:196], v[120:121], v[94:95]
	v_mul_f64 v[193:194], v[122:123], v[86:87]
	;; [unrolled: 1-line block ×9, first 2 shown]
	s_waitcnt vmcnt(7) lgkmcnt(3)
	v_mul_f64 v[70:71], v[26:27], v[101:102]
	s_waitcnt vmcnt(6)
	v_mul_f64 v[197:198], v[167:168], v[116:117]
	v_mul_f64 v[118:119], v[76:77], v[44:45]
	;; [unrolled: 1-line block ×3, first 2 shown]
	s_waitcnt vmcnt(5) lgkmcnt(2)
	v_mul_f64 v[201:202], v[169:170], v[139:140]
	v_mul_f64 v[181:182], v[78:79], v[60:61]
	;; [unrolled: 1-line block ×3, first 2 shown]
	s_waitcnt vmcnt(3)
	v_mul_f64 v[205:206], v[171:172], v[147:148]
	s_waitcnt vmcnt(2) lgkmcnt(1)
	v_mul_f64 v[207:208], v[179:180], v[151:152]
	v_mul_f64 v[86:87], v[14:15], v[86:87]
	;; [unrolled: 1-line block ×7, first 2 shown]
	v_fma_f64 v[30:31], v[8:9], v[28:29], v[36:37]
	v_fma_f64 v[116:117], v[72:73], v[28:29], -v[66:67]
	v_fma_f64 v[28:29], v[10:11], v[32:33], v[108:109]
	v_fma_f64 v[108:109], v[74:75], v[32:33], -v[34:35]
	v_fma_f64 v[34:35], v[38:39], v[62:63], v[183:184]
	s_waitcnt lgkmcnt(0)
	v_mul_f64 v[143:144], v[173:174], v[143:144]
	v_mul_f64 v[106:107], v[48:49], v[106:107]
	v_fma_f64 v[38:39], v[2:3], v[99:100], v[70:71]
	v_fma_f64 v[70:71], v[22:23], v[114:115], v[197:198]
	v_mul_f64 v[147:148], v[56:57], v[147:148]
	v_fma_f64 v[76:77], v[76:77], v[42:43], -v[44:45]
	v_fma_f64 v[44:45], v[40:41], v[68:69], v[64:65]
	v_fma_f64 v[64:65], v[46:47], v[80:81], v[189:190]
	v_fma_f64 v[72:73], v[54:55], v[137:138], v[201:202]
	s_waitcnt vmcnt(1)
	v_mul_f64 v[209:210], v[175:176], v[155:156]
	s_waitcnt vmcnt(0)
	v_mul_f64 v[211:212], v[165:166], v[159:160]
	v_mul_f64 v[155:156], v[52:53], v[155:156]
	;; [unrolled: 1-line block ×4, first 2 shown]
	v_fma_f64 v[32:33], v[16:17], v[42:43], v[118:119]
	v_fma_f64 v[66:67], v[78:79], v[58:59], -v[60:61]
	v_fma_f64 v[118:119], v[110:111], v[62:63], -v[185:186]
	;; [unrolled: 1-line block ×3, first 2 shown]
	v_fma_f64 v[46:47], v[48:49], v[104:105], v[191:192]
	v_fma_f64 v[74:75], v[12:13], v[92:93], v[195:196]
	;; [unrolled: 1-line block ×4, first 2 shown]
	v_fma_f64 v[112:113], v[161:162], v[80:81], -v[82:83]
	v_fma_f64 v[80:81], v[14:15], v[84:85], v[193:194]
	v_fma_f64 v[86:87], v[122:123], v[84:85], -v[86:87]
	v_fma_f64 v[94:95], v[120:121], v[92:93], -v[94:95]
	;; [unrolled: 1-line block ×4, first 2 shown]
	v_add_f64 v[2:3], v[38:39], v[34:35]
	v_add_f64 v[8:9], v[30:31], v[70:71]
	v_fma_f64 v[36:37], v[18:19], v[58:59], v[181:182]
	v_fma_f64 v[114:115], v[169:170], v[137:138], -v[139:140]
	v_fma_f64 v[82:83], v[173:174], v[141:142], -v[203:204]
	v_fma_f64 v[92:93], v[50:51], v[141:142], v[143:144]
	v_add_f64 v[10:11], v[64:65], v[44:45]
	v_add_f64 v[12:13], v[28:29], v[72:73]
	v_fma_f64 v[102:103], v[171:172], v[145:146], -v[147:148]
	v_fma_f64 v[26:27], v[52:53], v[153:154], v[209:210]
	v_fma_f64 v[84:85], v[20:21], v[157:158], v[211:212]
	v_fma_f64 v[98:99], v[175:176], v[153:154], -v[155:156]
	v_fma_f64 v[100:101], v[165:166], v[157:158], -v[159:160]
	;; [unrolled: 1-line block ×4, first 2 shown]
	v_add_f64 v[14:15], v[46:47], v[68:69]
	v_add_f64 v[16:17], v[74:75], v[78:79]
	;; [unrolled: 1-line block ×3, first 2 shown]
	v_add_f64 v[22:23], v[76:77], -v[86:87]
	v_add_f64 v[54:55], v[112:113], -v[110:111]
	v_add_f64 v[20:21], v[116:117], -v[120:121]
	v_add_f64 v[40:41], v[122:123], -v[118:119]
	v_add_f64 v[42:43], v[8:9], v[2:3]
	v_add_f64 v[50:51], v[108:109], -v[114:115]
	v_add_f64 v[52:53], v[66:67], -v[82:83]
	v_add_f64 v[48:49], v[92:93], v[36:37]
	v_add_f64 v[58:59], v[12:13], v[10:11]
	v_add_f64 v[60:61], v[94:95], -v[102:103]
	v_add_f64 v[56:57], v[26:27], v[84:85]
	v_add_f64 v[62:63], v[100:101], -v[98:99]
	v_add_f64 v[137:138], v[104:105], -v[106:107]
	v_add_f64 v[139:140], v[16:17], v[14:15]
	v_add_f64 v[141:142], v[2:3], -v[18:19]
	v_add_f64 v[143:144], v[18:19], -v[8:9]
	;; [unrolled: 1-line block ×5, first 2 shown]
	v_add_f64 v[20:21], v[22:23], v[20:21]
	v_add_f64 v[18:19], v[18:19], v[42:43]
	v_add_f64 v[22:23], v[40:41], -v[22:23]
	v_add_f64 v[153:154], v[50:51], -v[54:55]
	;; [unrolled: 1-line block ×5, first 2 shown]
	v_add_f64 v[48:49], v[48:49], v[58:59]
	v_add_f64 v[50:51], v[52:53], v[50:51]
	v_add_f64 v[52:53], v[54:55], -v[52:53]
	v_add_f64 v[58:59], v[14:15], -v[56:57]
	;; [unrolled: 1-line block ×6, first 2 shown]
	v_add_f64 v[60:61], v[62:63], v[60:61]
	v_add_f64 v[139:140], v[56:57], v[139:140]
	v_add_f64 v[56:57], v[56:57], -v[16:17]
	v_mul_f64 v[141:142], v[141:142], s[10:11]
	v_mul_f64 v[157:158], v[143:144], s[6:7]
	;; [unrolled: 1-line block ×4, first 2 shown]
	v_add_f64 v[20:21], v[20:21], v[40:41]
	v_add_f64 v[161:162], v[4:5], v[18:19]
	v_mul_f64 v[16:17], v[153:154], s[16:17]
	v_mul_f64 v[151:152], v[151:152], s[22:23]
	;; [unrolled: 1-line block ×4, first 2 shown]
	v_add_f64 v[163:164], v[6:7], v[48:49]
	v_add_f64 v[6:7], v[137:138], -v[62:63]
	v_mul_f64 v[58:59], v[58:59], s[10:11]
	v_mul_f64 v[62:63], v[155:156], s[22:23]
	;; [unrolled: 1-line block ×3, first 2 shown]
	v_add_f64 v[10:11], v[0:1], v[139:140]
	v_add_f64 v[0:1], v[50:51], v[54:55]
	v_mul_f64 v[50:51], v[56:57], s[6:7]
	v_add_f64 v[54:55], v[60:61], v[137:138]
	v_fma_f64 v[60:61], v[143:144], s[6:7], v[141:142]
	v_fma_f64 v[137:138], v[2:3], s[4:5], -v[157:158]
	v_fma_f64 v[2:3], v[2:3], s[12:13], -v[141:142]
	v_fma_f64 v[141:142], v[22:23], s[18:19], v[145:146]
	v_fma_f64 v[143:144], v[147:148], s[16:17], -v[145:146]
	v_fma_f64 v[22:23], v[22:23], s[20:21], -v[159:160]
	v_fma_f64 v[18:19], v[18:19], s[24:25], v[161:162]
	v_fma_f64 v[145:146], v[149:150], s[6:7], v[4:5]
	v_fma_f64 v[147:148], v[52:53], s[18:19], v[151:152]
	v_fma_f64 v[48:49], v[48:49], s[24:25], v[163:164]
	v_fma_f64 v[42:43], v[12:13], s[4:5], -v[42:43]
	v_fma_f64 v[149:150], v[153:154], s[16:17], -v[151:152]
	v_fma_f64 v[16:17], v[52:53], s[20:21], -v[16:17]
	v_fma_f64 v[4:5], v[12:13], s[12:13], -v[4:5]
	v_fma_f64 v[12:13], v[56:57], s[6:7], v[58:59]
	v_fma_f64 v[52:53], v[6:7], s[18:19], v[62:63]
	v_fma_f64 v[6:7], v[6:7], s[20:21], -v[40:41]
	v_fma_f64 v[8:9], v[8:9], s[16:17], -v[62:63]
	v_fma_f64 v[40:41], v[139:140], s[24:25], v[10:11]
	v_fma_f64 v[56:57], v[14:15], s[12:13], -v[58:59]
	v_fma_f64 v[14:15], v[14:15], s[4:5], -v[50:51]
	v_mov_b32_e32 v139, 0x2a0
	v_fma_f64 v[50:51], v[20:21], s[26:27], v[141:142]
	v_fma_f64 v[58:59], v[20:21], s[26:27], v[143:144]
	;; [unrolled: 1-line block ×3, first 2 shown]
	v_add_f64 v[22:23], v[60:61], v[18:19]
	v_add_f64 v[2:3], v[2:3], v[18:19]
	v_add_f64 v[18:19], v[137:138], v[18:19]
	v_fma_f64 v[60:61], v[0:1], s[26:27], v[147:148]
	v_add_f64 v[137:138], v[145:146], v[48:49]
	v_fma_f64 v[62:63], v[0:1], s[26:27], v[149:150]
	v_fma_f64 v[16:17], v[0:1], s[26:27], v[16:17]
	v_add_f64 v[4:5], v[4:5], v[48:49]
	v_add_f64 v[0:1], v[42:43], v[48:49]
	v_fma_f64 v[42:43], v[54:55], s[26:27], v[52:53]
	v_fma_f64 v[6:7], v[54:55], s[26:27], v[6:7]
	v_fma_f64 v[48:49], v[54:55], s[26:27], v[8:9]
	v_add_f64 v[52:53], v[12:13], v[40:41]
	v_add_f64 v[54:55], v[56:57], v[40:41]
	;; [unrolled: 1-line block ×3, first 2 shown]
	v_mov_b32_e32 v149, 3
	v_mul_u32_u24_sdwa v150, v129, v139 dst_sel:DWORD dst_unused:UNUSED_PAD src0_sel:WORD_0 src1_sel:DWORD
	v_mul_u32_u24_sdwa v126, v126, v139 dst_sel:DWORD dst_unused:UNUSED_PAD src0_sel:WORD_0 src1_sel:DWORD
	;; [unrolled: 1-line block ×3, first 2 shown]
	v_lshlrev_b32_sdwa v151, v149, v128 dst_sel:DWORD dst_unused:UNUSED_PAD src0_sel:DWORD src1_sel:BYTE_0
	v_lshlrev_b32_sdwa v127, v149, v127 dst_sel:DWORD dst_unused:UNUSED_PAD src0_sel:DWORD src1_sel:BYTE_0
	v_add_f64 v[56:57], v[50:51], v[22:23]
	v_add_f64 v[128:129], v[20:21], v[2:3]
	v_add_f64 v[139:140], v[18:19], -v[58:59]
	v_add_f64 v[58:59], v[58:59], v[18:19]
	v_add_f64 v[141:142], v[2:3], -v[20:21]
	v_add_f64 v[50:51], v[22:23], -v[50:51]
	v_add_f64 v[143:144], v[60:61], v[137:138]
	v_add_f64 v[145:146], v[16:17], v[4:5]
	v_add_f64 v[147:148], v[0:1], -v[62:63]
	v_add_f64 v[0:1], v[62:63], v[0:1]
	v_add_f64 v[2:3], v[4:5], -v[16:17]
	v_add_f64 v[8:9], v[137:138], -v[60:61]
	v_add_f64 v[12:13], v[42:43], v[52:53]
	v_add_f64 v[14:15], v[6:7], v[54:55]
	v_add_f64 v[16:17], v[40:41], -v[48:49]
	v_add_f64 v[18:19], v[48:49], v[40:41]
	v_add_f64 v[20:21], v[54:55], -v[6:7]
	v_add_f64 v[22:23], v[52:53], -v[42:43]
	v_lshlrev_b32_sdwa v4, v149, v124 dst_sel:DWORD dst_unused:UNUSED_PAD src0_sel:DWORD src1_sel:BYTE_0
	v_add3_u32 v127, 0, v150, v127
	v_add_nc_u32_e32 v124, 0xc00, v136
	v_add3_u32 v126, 0, v126, v151
	v_add3_u32 v125, 0, v125, v4
	ds_read2_b64 v[4:7], v136 offset1:44
	s_waitcnt lgkmcnt(0)
	s_barrier
	buffer_gl0_inv
	ds_write2_b64 v127, v[161:162], v[56:57] offset1:12
	ds_write2_b64 v127, v[128:129], v[139:140] offset0:24 offset1:36
	ds_write2_b64 v127, v[58:59], v[141:142] offset0:48 offset1:60
	ds_write_b64 v127, v[50:51] offset:576
	ds_write2_b64 v126, v[163:164], v[143:144] offset1:12
	ds_write2_b64 v126, v[145:146], v[147:148] offset0:24 offset1:36
	ds_write2_b64 v126, v[0:1], v[2:3] offset0:48 offset1:60
	ds_write_b64 v126, v[8:9] offset:576
	;; [unrolled: 4-line block ×3, first 2 shown]
	s_waitcnt lgkmcnt(0)
	s_barrier
	buffer_gl0_inv
	ds_read2_b64 v[40:43], v136 offset1:84
	ds_read2_b64 v[52:55], v136 offset0:168 offset1:252
	ds_read2_b64 v[60:63], v96 offset0:80 offset1:164
	;; [unrolled: 1-line block ×4, first 2 shown]
	ds_read_b64 v[96:97], v136 offset:6720
	s_and_saveexec_b32 s1, s0
	s_cbranch_execz .LBB0_29
; %bb.28:
	v_add_nc_u32_e32 v8, 0x400, v136
	v_add_nc_u32_e32 v12, 0x800, v136
	;; [unrolled: 1-line block ×4, first 2 shown]
	ds_read2_b64 v[0:3], v136 offset0:44 offset1:128
	ds_read2_b64 v[8:11], v8 offset0:84 offset1:168
	;; [unrolled: 1-line block ×5, first 2 shown]
	ds_read_b64 v[88:89], v136 offset:7072
.LBB0_29:
	s_or_b32 exec_lo, exec_lo, s1
	v_add_f64 v[118:119], v[122:123], v[118:119]
	v_add_f64 v[116:117], v[116:117], v[120:121]
	;; [unrolled: 1-line block ×7, first 2 shown]
	v_add_f64 v[30:31], v[30:31], -v[70:71]
	v_add_f64 v[32:33], v[32:33], -v[80:81]
	;; [unrolled: 1-line block ×3, first 2 shown]
	v_add_f64 v[66:67], v[82:83], v[66:67]
	v_add_f64 v[28:29], v[28:29], -v[72:73]
	v_add_f64 v[36:37], v[36:37], -v[92:93]
	;; [unrolled: 1-line block ×4, first 2 shown]
	v_add_f64 v[72:73], v[98:99], v[100:101]
	v_add_f64 v[26:27], v[84:85], -v[26:27]
	v_add_f64 v[46:47], v[46:47], -v[68:69]
	s_waitcnt lgkmcnt(0)
	s_barrier
	buffer_gl0_inv
	v_add_f64 v[38:39], v[116:117], v[118:119]
	v_add_f64 v[92:93], v[116:117], -v[118:119]
	v_add_f64 v[64:65], v[108:109], v[110:111]
	v_add_f64 v[68:69], v[94:95], v[104:105]
	v_add_f64 v[74:75], v[118:119], -v[76:77]
	v_add_f64 v[78:79], v[76:77], -v[116:117]
	;; [unrolled: 1-line block ×5, first 2 shown]
	v_add_f64 v[30:31], v[32:33], v[30:31]
	v_add_f64 v[86:87], v[36:37], -v[28:29]
	v_add_f64 v[98:99], v[28:29], -v[44:45]
	v_add_f64 v[28:29], v[36:37], v[28:29]
	v_add_f64 v[32:33], v[34:35], -v[32:33]
	v_add_f64 v[100:101], v[26:27], -v[70:71]
	;; [unrolled: 1-line block ×3, first 2 shown]
	v_add_f64 v[70:71], v[26:27], v[70:71]
	v_add_f64 v[108:109], v[108:109], -v[110:111]
	v_add_f64 v[36:37], v[44:45], -v[36:37]
	v_add_f64 v[38:39], v[76:77], v[38:39]
	v_add_f64 v[76:77], v[110:111], -v[66:67]
	v_add_f64 v[64:65], v[66:67], v[64:65]
	;; [unrolled: 2-line block ×3, first 2 shown]
	v_add_f64 v[72:73], v[72:73], -v[94:95]
	v_mul_f64 v[74:75], v[74:75], s[10:11]
	v_mul_f64 v[80:81], v[80:81], s[22:23]
	;; [unrolled: 1-line block ×4, first 2 shown]
	v_add_f64 v[94:95], v[94:95], -v[104:105]
	v_mul_f64 v[86:87], v[86:87], s[22:23]
	v_mul_f64 v[104:105], v[98:99], s[16:17]
	v_add_f64 v[30:31], v[30:31], v[34:35]
	v_mul_f64 v[100:101], v[100:101], s[22:23]
	v_mul_f64 v[34:35], v[102:103], s[16:17]
	v_add_f64 v[112:113], v[4:5], v[38:39]
	v_mul_f64 v[4:5], v[76:77], s[10:11]
	v_add_f64 v[114:115], v[6:7], v[64:65]
	v_mul_f64 v[76:77], v[84:85], s[6:7]
	v_add_f64 v[6:7], v[46:47], -v[26:27]
	v_mul_f64 v[66:67], v[66:67], s[10:11]
	v_add_f64 v[26:27], v[24:25], v[68:69]
	v_add_f64 v[24:25], v[28:29], v[44:45]
	v_mul_f64 v[28:29], v[72:73], s[6:7]
	v_add_f64 v[44:45], v[70:71], v[46:47]
	v_fma_f64 v[46:47], v[78:79], s[6:7], v[74:75]
	v_fma_f64 v[78:79], v[32:33], s[18:19], v[80:81]
	v_fma_f64 v[80:81], v[82:83], s[16:17], -v[80:81]
	v_fma_f64 v[32:33], v[32:33], s[20:21], -v[110:111]
	;; [unrolled: 1-line block ×4, first 2 shown]
	v_fma_f64 v[38:39], v[38:39], s[24:25], v[112:113]
	v_fma_f64 v[82:83], v[84:85], s[6:7], v[4:5]
	;; [unrolled: 1-line block ×3, first 2 shown]
	v_fma_f64 v[86:87], v[98:99], s[16:17], -v[86:87]
	v_fma_f64 v[36:37], v[36:37], s[20:21], -v[104:105]
	v_fma_f64 v[64:65], v[64:65], s[24:25], v[114:115]
	v_fma_f64 v[76:77], v[108:109], s[4:5], -v[76:77]
	v_fma_f64 v[4:5], v[108:109], s[12:13], -v[4:5]
	v_fma_f64 v[72:73], v[72:73], s[6:7], v[66:67]
	v_fma_f64 v[92:93], v[6:7], s[18:19], v[100:101]
	v_fma_f64 v[6:7], v[6:7], s[20:21], -v[34:35]
	v_fma_f64 v[34:35], v[68:69], s[24:25], v[26:27]
	v_fma_f64 v[98:99], v[102:103], s[16:17], -v[100:101]
	v_fma_f64 v[66:67], v[94:95], s[12:13], -v[66:67]
	;; [unrolled: 1-line block ×3, first 2 shown]
	v_fma_f64 v[68:69], v[30:31], s[26:27], v[78:79]
	v_fma_f64 v[78:79], v[30:31], s[26:27], v[80:81]
	;; [unrolled: 1-line block ×3, first 2 shown]
	v_add_f64 v[32:33], v[46:47], v[38:39]
	v_add_f64 v[46:47], v[74:75], v[38:39]
	;; [unrolled: 1-line block ×3, first 2 shown]
	v_fma_f64 v[70:71], v[24:25], s[26:27], v[84:85]
	v_fma_f64 v[74:75], v[24:25], s[26:27], v[86:87]
	;; [unrolled: 1-line block ×3, first 2 shown]
	v_add_f64 v[36:37], v[82:83], v[64:65]
	v_add_f64 v[80:81], v[4:5], v[64:65]
	;; [unrolled: 1-line block ×3, first 2 shown]
	v_fma_f64 v[64:65], v[44:45], s[26:27], v[92:93]
	v_add_f64 v[72:73], v[72:73], v[34:35]
	v_fma_f64 v[76:77], v[44:45], s[26:27], v[98:99]
	v_fma_f64 v[44:45], v[44:45], s[26:27], v[6:7]
	v_add_f64 v[66:67], v[66:67], v[34:35]
	v_add_f64 v[34:35], v[28:29], v[34:35]
	v_add_f64 v[82:83], v[32:33], -v[68:69]
	v_add_f64 v[84:85], v[46:47], -v[30:31]
	v_add_f64 v[86:87], v[78:79], v[38:39]
	v_add_f64 v[78:79], v[38:39], -v[78:79]
	v_add_f64 v[46:47], v[30:31], v[46:47]
	v_add_f64 v[68:69], v[68:69], v[32:33]
	v_add_f64 v[92:93], v[36:37], -v[70:71]
	v_add_f64 v[94:95], v[80:81], -v[24:25]
	v_add_f64 v[98:99], v[74:75], v[4:5]
	v_add_f64 v[243:244], v[4:5], -v[74:75]
	v_add_f64 v[245:246], v[24:25], v[80:81]
	v_add_f64 v[24:25], v[70:71], v[36:37]
	v_add_f64 v[28:29], v[72:73], -v[64:65]
	v_add_f64 v[38:39], v[64:65], v[72:73]
	v_add_f64 v[30:31], v[66:67], -v[44:45]
	;; [unrolled: 2-line block ×3, first 2 shown]
	v_add_f64 v[36:37], v[44:45], v[66:67]
	v_add_nc_u32_e32 v80, 0x800, v136
	v_add_nc_u32_e32 v81, 0x1000, v136
	ds_write2_b64 v127, v[112:113], v[82:83] offset1:12
	ds_write2_b64 v127, v[84:85], v[86:87] offset0:24 offset1:36
	ds_write2_b64 v127, v[78:79], v[46:47] offset0:48 offset1:60
	ds_write_b64 v127, v[68:69] offset:576
	ds_write2_b64 v126, v[114:115], v[92:93] offset1:12
	ds_write2_b64 v126, v[94:95], v[98:99] offset0:24 offset1:36
	ds_write2_b64 v126, v[243:244], v[245:246] offset0:48 offset1:60
	ds_write_b64 v126, v[24:25] offset:576
	ds_write2_b64 v125, v[26:27], v[28:29] offset1:12
	ds_write2_b64 v125, v[30:31], v[32:33] offset0:24 offset1:36
	ds_write2_b64 v125, v[34:35], v[36:37] offset0:48 offset1:60
	ds_write_b64 v125, v[38:39] offset:576
	s_waitcnt lgkmcnt(0)
	s_barrier
	buffer_gl0_inv
	ds_read2_b64 v[44:47], v136 offset1:84
	ds_read2_b64 v[68:71], v136 offset0:168 offset1:252
	ds_read2_b64 v[76:79], v80 offset0:80 offset1:164
	;; [unrolled: 1-line block ×4, first 2 shown]
	ds_read_b64 v[98:99], v136 offset:6720
	s_and_saveexec_b32 s1, s0
	s_cbranch_execz .LBB0_31
; %bb.30:
	v_add_nc_u32_e32 v4, 0x400, v136
	v_add_nc_u32_e32 v5, 0x1400, v136
	ds_read2_b64 v[243:246], v136 offset0:44 offset1:128
	ds_read2_b64 v[28:31], v80 offset0:124 offset1:208
	;; [unrolled: 1-line block ×5, first 2 shown]
	ds_read_b64 v[90:91], v136 offset:7072
.LBB0_31:
	s_or_b32 exec_lo, exec_lo, s1
	s_and_saveexec_b32 s1, vcc_lo
	s_cbranch_execz .LBB0_34
; %bb.32:
	v_mul_u32_u24_e32 v4, 10, v134
	s_mov_b32 s4, 0x43842ef
	s_mov_b32 s10, 0xfd768dbf
	;; [unrolled: 1-line block ×4, first 2 shown]
	v_lshlrev_b32_e32 v4, 4, v4
	s_mov_b32 s24, 0xbb3a28a1
	s_mov_b32 s5, 0xbfefac9e
	;; [unrolled: 1-line block ×4, first 2 shown]
	s_clause 0x1
	global_load_dwordx4 v[82:85], v4, s[8:9] offset:1376
	global_load_dwordx4 v[92:95], v4, s[8:9] offset:1392
	s_mov_b32 s19, 0x3fe14ced
	s_mov_b32 s21, 0xbfe14ced
	;; [unrolled: 1-line block ×20, first 2 shown]
	v_lshrrev_b32_e32 v6, 2, v134
	v_mul_lo_u32 v5, s2, v133
	v_mul_hi_u32 v6, 0x30c30c31, v6
	v_lshrrev_b32_e32 v6, 2, v6
	v_mul_lo_u32 v6, 0x54, v6
	v_sub_nc_u32_e32 v6, v134, v6
	v_lshlrev_b32_e32 v6, 4, v6
	s_waitcnt vmcnt(1) lgkmcnt(3)
	v_mul_f64 v[80:81], v[78:79], v[84:85]
	v_fma_f64 v[80:81], v[62:63], v[82:83], v[80:81]
	v_mul_f64 v[62:63], v[62:63], v[84:85]
	v_fma_f64 v[62:63], v[78:79], v[82:83], -v[62:63]
	s_clause 0x1
	global_load_dwordx4 v[82:85], v4, s[8:9] offset:1360
	global_load_dwordx4 v[100:103], v4, s[8:9] offset:1344
	s_waitcnt vmcnt(1)
	v_mul_f64 v[78:79], v[76:77], v[84:85]
	v_fma_f64 v[78:79], v[60:61], v[82:83], v[78:79]
	v_mul_f64 v[60:61], v[60:61], v[84:85]
	s_clause 0x1
	global_load_dwordx4 v[84:87], v4, s[8:9] offset:1408
	global_load_dwordx4 v[104:107], v4, s[8:9] offset:1424
	v_fma_f64 v[76:77], v[76:77], v[82:83], -v[60:61]
	s_waitcnt lgkmcnt(2)
	v_mul_f64 v[60:61], v[72:73], v[94:95]
	v_fma_f64 v[60:61], v[56:57], v[92:93], v[60:61]
	v_mul_f64 v[56:57], v[56:57], v[94:95]
	v_add_f64 v[176:177], v[80:81], -v[60:61]
	v_fma_f64 v[72:73], v[72:73], v[92:93], -v[56:57]
	v_add_f64 v[184:185], v[80:81], v[60:61]
	v_mul_f64 v[180:181], v[176:177], s[24:25]
	v_add_f64 v[178:179], v[62:63], v[72:73]
	v_add_f64 v[182:183], v[62:63], -v[72:73]
	v_mul_f64 v[200:201], v[176:177], s[18:19]
	v_mul_f64 v[212:213], v[176:177], s[16:17]
	;; [unrolled: 1-line block ×7, first 2 shown]
	s_waitcnt vmcnt(1)
	v_mul_f64 v[56:57], v[74:75], v[86:87]
	v_fma_f64 v[82:83], v[58:59], v[84:85], v[56:57]
	v_mul_f64 v[56:57], v[58:59], v[86:87]
	v_add_f64 v[164:165], v[78:79], -v[82:83]
	v_fma_f64 v[74:75], v[74:75], v[84:85], -v[56:57]
	v_mul_f64 v[56:57], v[70:71], v[102:103]
	v_add_f64 v[172:173], v[78:79], v[82:83]
	v_mul_f64 v[168:169], v[164:165], s[20:21]
	v_add_f64 v[166:167], v[76:77], v[74:75]
	v_fma_f64 v[84:85], v[54:55], v[100:101], v[56:57]
	v_mul_f64 v[54:55], v[54:55], v[102:103]
	v_add_f64 v[170:171], v[76:77], -v[74:75]
	v_mul_f64 v[196:197], v[164:165], s[36:37]
	v_mul_f64 v[208:209], v[164:165], s[10:11]
	v_fma_f64 v[70:71], v[70:71], v[100:101], -v[54:55]
	s_clause 0x1
	global_load_dwordx4 v[54:57], v4, s[8:9] offset:1328
	global_load_dwordx4 v[100:103], v4, s[8:9] offset:1312
	v_mul_f64 v[174:175], v[170:171], s[20:21]
	v_mul_f64 v[198:199], v[170:171], s[36:37]
	;; [unrolled: 1-line block ×3, first 2 shown]
	s_waitcnt vmcnt(1)
	v_mul_f64 v[58:59], v[68:69], v[56:57]
	v_fma_f64 v[92:93], v[52:53], v[54:55], v[58:59]
	v_mul_f64 v[52:53], v[52:53], v[56:57]
	v_fma_f64 v[94:95], v[68:69], v[54:55], -v[52:53]
	s_waitcnt lgkmcnt(1)
	v_mul_f64 v[52:53], v[64:65], v[106:107]
	v_fma_f64 v[68:69], v[48:49], v[104:105], v[52:53]
	v_mul_f64 v[48:49], v[48:49], v[106:107]
	v_add_f64 v[152:153], v[84:85], -v[68:69]
	v_fma_f64 v[86:87], v[64:65], v[104:105], -v[48:49]
	s_clause 0x1
	global_load_dwordx4 v[52:55], v4, s[8:9] offset:1440
	global_load_dwordx4 v[104:107], v4, s[8:9] offset:1456
	v_add_f64 v[160:161], v[84:85], v[68:69]
	v_mul_lo_u32 v4, s3, v132
	v_mul_f64 v[156:157], v[152:153], s[16:17]
	v_add_f64 v[154:155], v[70:71], v[86:87]
	v_add_f64 v[158:159], v[70:71], -v[86:87]
	v_mul_f64 v[192:193], v[152:153], s[34:35]
	v_mul_f64 v[162:163], v[158:159], s[16:17]
	;; [unrolled: 1-line block ×4, first 2 shown]
	s_waitcnt vmcnt(1)
	v_mul_f64 v[48:49], v[66:67], v[54:55]
	v_fma_f64 v[64:65], v[50:51], v[52:53], v[48:49]
	v_mul_f64 v[48:49], v[50:51], v[54:55]
	v_add_f64 v[142:143], v[92:93], -v[64:65]
	v_fma_f64 v[66:67], v[66:67], v[52:53], -v[48:49]
	s_waitcnt vmcnt(0) lgkmcnt(0)
	v_mul_f64 v[48:49], v[98:99], v[106:107]
	v_add_f64 v[148:149], v[92:93], v[64:65]
	v_mul_f64 v[146:147], v[142:143], s[34:35]
	v_add_f64 v[144:145], v[94:95], v[66:67]
	v_fma_f64 v[56:57], v[96:97], v[104:105], v[48:49]
	v_mul_f64 v[48:49], v[96:97], v[106:107]
	v_mul_f64 v[188:189], v[142:143], s[24:25]
	v_fma_f64 v[58:59], v[98:99], v[104:105], -v[48:49]
	v_mul_f64 v[48:49], v[46:47], v[102:103]
	v_fma_f64 v[48:49], v[42:43], v[100:101], v[48:49]
	v_mul_f64 v[42:43], v[42:43], v[102:103]
	v_add_f64 v[50:51], v[48:49], -v[56:57]
	v_fma_f64 v[42:43], v[46:47], v[100:101], -v[42:43]
	v_add_f64 v[128:129], v[40:41], v[48:49]
	v_mul_f64 v[46:47], v[50:51], s[4:5]
	v_mul_f64 v[52:53], v[50:51], s[30:31]
	;; [unrolled: 1-line block ×5, first 2 shown]
	v_add_f64 v[98:99], v[42:43], v[58:59]
	v_add_f64 v[122:123], v[44:45], v[42:43]
	v_add_f64 v[42:43], v[42:43], -v[58:59]
	v_add_f64 v[92:93], v[92:93], v[128:129]
	v_fma_f64 v[100:101], v[98:99], s[12:13], v[96:97]
	v_fma_f64 v[96:97], v[98:99], s[12:13], -v[96:97]
	v_fma_f64 v[102:103], v[98:99], s[28:29], -v[54:55]
	v_fma_f64 v[54:55], v[98:99], s[28:29], v[54:55]
	v_fma_f64 v[104:105], v[98:99], s[6:7], -v[46:47]
	v_fma_f64 v[46:47], v[98:99], s[6:7], v[46:47]
	;; [unrolled: 2-line block ×3, first 2 shown]
	v_fma_f64 v[108:109], v[98:99], s[26:27], v[50:51]
	v_fma_f64 v[50:51], v[98:99], s[26:27], -v[50:51]
	v_add_f64 v[84:85], v[84:85], v[92:93]
	v_add_f64 v[100:101], v[44:45], v[100:101]
	;; [unrolled: 1-line block ×11, first 2 shown]
	v_mul_f64 v[44:45], v[42:43], s[4:5]
	v_mul_f64 v[46:47], v[42:43], s[30:31]
	;; [unrolled: 1-line block ×5, first 2 shown]
	v_add_f64 v[54:55], v[48:49], v[56:57]
	v_fma_f64 v[108:109], v[54:55], s[12:13], -v[52:53]
	v_fma_f64 v[52:53], v[54:55], s[12:13], v[52:53]
	v_fma_f64 v[114:115], v[54:55], s[28:29], v[50:51]
	v_fma_f64 v[50:51], v[54:55], s[28:29], -v[50:51]
	v_fma_f64 v[118:119], v[54:55], s[6:7], v[44:45]
	v_fma_f64 v[44:45], v[54:55], s[6:7], -v[44:45]
	;; [unrolled: 2-line block ×3, first 2 shown]
	v_fma_f64 v[126:127], v[54:55], s[26:27], -v[42:43]
	v_fma_f64 v[42:43], v[54:55], s[26:27], v[42:43]
	v_add_f64 v[108:109], v[40:41], v[108:109]
	v_add_f64 v[114:115], v[40:41], v[114:115]
	;; [unrolled: 1-line block ×10, first 2 shown]
	v_fma_f64 v[40:41], v[144:145], s[12:13], -v[146:147]
	v_fma_f64 v[44:45], v[154:155], s[22:23], -v[156:157]
	v_add_f64 v[40:41], v[40:41], v[98:99]
	v_add_f64 v[98:99], v[94:95], -v[66:67]
	v_add_f64 v[94:95], v[94:95], v[122:123]
	v_add_f64 v[40:41], v[44:45], v[40:41]
	v_mul_f64 v[150:151], v[98:99], s[34:35]
	v_fma_f64 v[44:45], v[160:161], s[22:23], v[162:163]
	v_mul_f64 v[190:191], v[98:99], s[24:25]
	v_mul_f64 v[204:205], v[98:99], s[36:37]
	v_add_f64 v[70:71], v[70:71], v[94:95]
	v_fma_f64 v[42:43], v[148:149], s[12:13], v[150:151]
	v_fma_f64 v[46:47], v[148:149], s[28:29], v[190:191]
	;; [unrolled: 1-line block ×3, first 2 shown]
	v_add_f64 v[70:71], v[76:77], v[70:71]
	v_add_f64 v[76:77], v[78:79], v[84:85]
	;; [unrolled: 1-line block ×3, first 2 shown]
	v_fma_f64 v[48:49], v[154:155], s[12:13], -v[192:193]
	v_add_f64 v[46:47], v[46:47], v[54:55]
	v_add_f64 v[50:51], v[50:51], v[114:115]
	v_mul_f64 v[114:115], v[152:153], s[20:21]
	v_add_f64 v[62:63], v[62:63], v[70:71]
	v_add_f64 v[76:77], v[80:81], v[76:77]
	;; [unrolled: 1-line block ×3, first 2 shown]
	v_fma_f64 v[44:45], v[166:167], s[26:27], -v[168:169]
	v_fma_f64 v[52:53], v[154:155], s[26:27], -v[114:115]
	v_add_f64 v[62:63], v[72:73], v[62:63]
	v_add_f64 v[60:61], v[60:61], v[76:77]
	;; [unrolled: 1-line block ×3, first 2 shown]
	v_fma_f64 v[44:45], v[172:173], s[26:27], v[174:175]
	v_add_f64 v[62:63], v[74:75], v[62:63]
	v_add_f64 v[60:61], v[82:83], v[60:61]
	v_add_nc_u32_e32 v82, 44, v134
	v_add_f64 v[44:45], v[44:45], v[42:43]
	v_fma_f64 v[42:43], v[178:179], s[28:29], -v[180:181]
	v_add_f64 v[62:63], v[86:87], v[62:63]
	v_add_f64 v[60:61], v[68:69], v[60:61]
	;; [unrolled: 1-line block ×3, first 2 shown]
	v_fma_f64 v[40:41], v[184:185], s[28:29], v[186:187]
	v_add_f64 v[66:67], v[66:67], v[62:63]
	v_add_f64 v[64:65], v[64:65], v[60:61]
	v_add_f64 v[40:41], v[40:41], v[44:45]
	v_fma_f64 v[44:45], v[144:145], s[28:29], -v[188:189]
	v_add_f64 v[58:59], v[58:59], v[66:67]
	v_add_f64 v[56:57], v[56:57], v[64:65]
	;; [unrolled: 1-line block ×3, first 2 shown]
	v_mul_f64 v[104:105], v[142:143], s[36:37]
	v_add_f64 v[44:45], v[48:49], v[44:45]
	v_fma_f64 v[48:49], v[160:161], s[12:13], v[194:195]
	v_add_f64 v[46:47], v[48:49], v[46:47]
	v_fma_f64 v[48:49], v[166:167], s[6:7], -v[196:197]
	v_add_f64 v[44:45], v[48:49], v[44:45]
	v_fma_f64 v[48:49], v[172:173], s[6:7], v[198:199]
	v_add_f64 v[48:49], v[48:49], v[46:47]
	v_fma_f64 v[46:47], v[178:179], s[26:27], -v[200:201]
	;; [unrolled: 4-line block ×3, first 2 shown]
	v_add_f64 v[48:49], v[48:49], v[102:103]
	v_mul_f64 v[102:103], v[142:143], s[18:19]
	v_add_f64 v[48:49], v[52:53], v[48:49]
	v_fma_f64 v[52:53], v[160:161], s[26:27], v[206:207]
	v_add_f64 v[50:51], v[52:53], v[50:51]
	v_fma_f64 v[52:53], v[166:167], s[12:13], -v[208:209]
	v_add_f64 v[48:49], v[52:53], v[48:49]
	v_fma_f64 v[52:53], v[172:173], s[12:13], v[210:211]
	v_add_f64 v[52:53], v[52:53], v[50:51]
	v_fma_f64 v[50:51], v[178:179], s[22:23], -v[212:213]
	v_add_f64 v[50:51], v[50:51], v[48:49]
	v_fma_f64 v[48:49], v[184:185], s[22:23], v[214:215]
	v_add_f64 v[48:49], v[48:49], v[52:53]
	v_fma_f64 v[52:53], v[144:145], s[26:27], v[102:103]
	v_fma_f64 v[102:103], v[144:145], s[26:27], -v[102:103]
	v_add_f64 v[52:53], v[52:53], v[100:101]
	v_mul_f64 v[100:101], v[98:99], s[18:19]
	v_add_f64 v[96:97], v[102:103], v[96:97]
	v_mul_f64 v[98:99], v[98:99], s[30:31]
	v_fma_f64 v[54:55], v[148:149], s[26:27], -v[100:101]
	v_fma_f64 v[100:101], v[148:149], s[26:27], v[100:101]
	v_fma_f64 v[78:79], v[148:149], s[22:23], v[98:99]
	v_add_f64 v[54:55], v[54:55], v[108:109]
	v_mul_f64 v[108:109], v[152:153], s[24:25]
	v_add_f64 v[100:101], v[100:101], v[118:119]
	v_fma_f64 v[118:119], v[184:185], s[26:27], -v[202:203]
	v_add_f64 v[78:79], v[78:79], v[140:141]
	v_fma_f64 v[216:217], v[154:155], s[28:29], v[108:109]
	v_fma_f64 v[102:103], v[154:155], s[28:29], -v[108:109]
	v_fma_f64 v[108:109], v[184:185], s[6:7], v[226:227]
	v_add_f64 v[52:53], v[216:217], v[52:53]
	v_mul_f64 v[216:217], v[158:159], s[24:25]
	v_add_f64 v[96:97], v[102:103], v[96:97]
	v_fma_f64 v[218:219], v[160:161], s[28:29], -v[216:217]
	v_fma_f64 v[102:103], v[160:161], s[28:29], v[216:217]
	v_add_f64 v[54:55], v[218:219], v[54:55]
	v_mul_f64 v[218:219], v[164:165], s[16:17]
	v_add_f64 v[100:101], v[102:103], v[100:101]
	v_fma_f64 v[220:221], v[166:167], s[22:23], v[218:219]
	v_fma_f64 v[102:103], v[166:167], s[22:23], -v[218:219]
	v_add_f64 v[52:53], v[220:221], v[52:53]
	v_mul_f64 v[220:221], v[170:171], s[16:17]
	v_add_f64 v[96:97], v[102:103], v[96:97]
	v_fma_f64 v[102:103], v[172:173], s[22:23], v[220:221]
	v_fma_f64 v[222:223], v[172:173], s[22:23], -v[220:221]
	v_add_f64 v[100:101], v[102:103], v[100:101]
	v_fma_f64 v[102:103], v[178:179], s[6:7], -v[224:225]
	v_add_f64 v[222:223], v[222:223], v[54:55]
	v_fma_f64 v[54:55], v[178:179], s[6:7], v[224:225]
	v_add_f64 v[100:101], v[108:109], v[100:101]
	v_add_f64 v[102:103], v[102:103], v[96:97]
	v_fma_f64 v[96:97], v[144:145], s[6:7], v[104:105]
	v_fma_f64 v[104:105], v[148:149], s[6:7], -v[204:205]
	v_fma_f64 v[108:109], v[184:185], s[22:23], -v[214:215]
	v_add_f64 v[54:55], v[54:55], v[52:53]
	v_fma_f64 v[52:53], v[184:185], s[6:7], -v[226:227]
	v_add_f64 v[96:97], v[96:97], v[106:107]
	v_fma_f64 v[106:107], v[154:155], s[26:27], v[114:115]
	v_add_f64 v[104:105], v[104:105], v[124:125]
	v_fma_f64 v[114:115], v[184:185], s[28:29], -v[186:187]
	v_mul_f64 v[124:125], v[152:153], s[4:5]
	v_add_f64 v[52:53], v[52:53], v[222:223]
	v_add_f64 v[96:97], v[106:107], v[96:97]
	v_fma_f64 v[106:107], v[160:161], s[26:27], -v[206:207]
	v_fma_f64 v[72:73], v[154:155], s[6:7], -v[124:125]
	v_add_f64 v[104:105], v[106:107], v[104:105]
	v_fma_f64 v[106:107], v[166:167], s[12:13], v[208:209]
	v_add_f64 v[96:97], v[106:107], v[96:97]
	v_fma_f64 v[106:107], v[172:173], s[12:13], -v[210:211]
	v_add_f64 v[104:105], v[106:107], v[104:105]
	v_fma_f64 v[106:107], v[178:179], s[22:23], v[212:213]
	v_add_f64 v[104:105], v[108:109], v[104:105]
	v_add_f64 v[106:107], v[106:107], v[96:97]
	v_fma_f64 v[96:97], v[144:145], s[12:13], v[146:147]
	v_fma_f64 v[108:109], v[148:149], s[12:13], -v[150:151]
	v_mul_f64 v[146:147], v[176:177], s[10:11]
	v_mul_f64 v[150:151], v[182:183], s[10:11]
	v_add_f64 v[96:97], v[96:97], v[110:111]
	v_fma_f64 v[110:111], v[154:155], s[22:23], v[156:157]
	v_add_f64 v[108:109], v[108:109], v[136:137]
	v_fma_f64 v[83:84], v[184:185], s[12:13], v[150:151]
	v_add_f64 v[96:97], v[110:111], v[96:97]
	v_fma_f64 v[110:111], v[160:161], s[22:23], -v[162:163]
	v_add_f64 v[108:109], v[110:111], v[108:109]
	v_fma_f64 v[110:111], v[166:167], s[26:27], v[168:169]
	v_add_f64 v[96:97], v[110:111], v[96:97]
	v_fma_f64 v[110:111], v[172:173], s[26:27], -v[174:175]
	v_add_f64 v[108:109], v[110:111], v[108:109]
	v_fma_f64 v[110:111], v[178:179], s[28:29], v[180:181]
	v_add_f64 v[108:109], v[114:115], v[108:109]
	v_add_f64 v[110:111], v[110:111], v[96:97]
	v_fma_f64 v[96:97], v[144:145], s[28:29], v[188:189]
	v_fma_f64 v[114:115], v[154:155], s[12:13], v[192:193]
	v_add_f64 v[96:97], v[96:97], v[112:113]
	v_fma_f64 v[112:113], v[148:149], s[28:29], -v[190:191]
	v_add_f64 v[96:97], v[114:115], v[96:97]
	v_add_f64 v[112:113], v[112:113], v[138:139]
	v_fma_f64 v[114:115], v[160:161], s[12:13], -v[194:195]
	v_add_f64 v[112:113], v[114:115], v[112:113]
	v_fma_f64 v[114:115], v[166:167], s[6:7], v[196:197]
	v_add_f64 v[96:97], v[114:115], v[96:97]
	v_fma_f64 v[114:115], v[172:173], s[6:7], -v[198:199]
	v_add_f64 v[112:113], v[114:115], v[112:113]
	v_fma_f64 v[114:115], v[178:179], s[26:27], v[200:201]
	v_add_f64 v[112:113], v[118:119], v[112:113]
	v_add_f64 v[114:115], v[114:115], v[96:97]
	v_mul_f64 v[96:97], v[142:143], s[30:31]
	v_fma_f64 v[118:119], v[144:145], s[22:23], v[96:97]
	v_fma_f64 v[70:71], v[144:145], s[22:23], -v[96:97]
	v_add_f64 v[116:117], v[118:119], v[116:117]
	v_fma_f64 v[118:119], v[148:149], s[22:23], -v[98:99]
	v_add_f64 v[70:71], v[70:71], v[120:121]
	v_add_f64 v[118:119], v[118:119], v[126:127]
	v_fma_f64 v[126:127], v[154:155], s[6:7], v[124:125]
	v_add_f64 v[70:71], v[72:73], v[70:71]
	v_add_f64 v[116:117], v[126:127], v[116:117]
	v_mul_f64 v[126:127], v[158:159], s[4:5]
	v_fma_f64 v[136:137], v[160:161], s[6:7], -v[126:127]
	v_fma_f64 v[80:81], v[160:161], s[6:7], v[126:127]
	v_add_f64 v[118:119], v[136:137], v[118:119]
	v_mul_f64 v[136:137], v[164:165], s[24:25]
	v_add_f64 v[72:73], v[80:81], v[78:79]
	v_mad_u64_u32 v[78:79], null, s2, v132, 0
	v_fma_f64 v[80:81], v[178:179], s[12:13], -v[146:147]
	v_add3_u32 v79, v79, v5, v4
	v_lshlrev_b64 v[62:63], 4, v[78:79]
	v_add_co_u32 v4, vcc_lo, s14, v62
	v_fma_f64 v[138:139], v[166:167], s[28:29], v[136:137]
	v_fma_f64 v[74:75], v[166:167], s[28:29], -v[136:137]
	v_add_co_ci_u32_e32 v5, vcc_lo, s15, v63, vcc_lo
	v_lshlrev_b64 v[62:63], 4, v[130:131]
	v_add_co_u32 v98, vcc_lo, v4, v62
	v_add_co_ci_u32_e32 v99, vcc_lo, v5, v63, vcc_lo
	v_cmp_gt_u32_e32 vcc_lo, 0x54, v82
	v_add_co_u32 v68, s1, v98, v6
	v_add_co_ci_u32_e64 v69, s1, 0, v99, s1
	v_add_f64 v[116:117], v[138:139], v[116:117]
	v_mul_f64 v[138:139], v[170:171], s[24:25]
	v_add_f64 v[70:71], v[74:75], v[70:71]
	v_fma_f64 v[142:143], v[172:173], s[28:29], -v[138:139]
	v_fma_f64 v[76:77], v[172:173], s[28:29], v[138:139]
	v_add_f64 v[62:63], v[80:81], v[70:71]
	v_add_co_u32 v70, s1, 0x800, v68
	v_add_co_ci_u32_e64 v71, s1, 0, v69, s1
	global_store_dwordx4 v[70:71], v[44:47], off offset:640
	v_add_f64 v[142:143], v[142:143], v[118:119]
	v_fma_f64 v[118:119], v[178:179], s[12:13], v[146:147]
	v_add_f64 v[72:73], v[76:77], v[72:73]
	v_add_f64 v[118:119], v[118:119], v[116:117]
	v_fma_f64 v[116:117], v[184:185], s[12:13], -v[150:151]
	v_add_f64 v[60:61], v[83:84], v[72:73]
	v_add_co_u32 v72, s1, 0x1000, v68
	v_add_co_ci_u32_e64 v73, s1, 0, v69, s1
	v_add_co_u32 v64, s1, 0x1800, v68
	v_add_co_ci_u32_e64 v65, s1, 0, v69, s1
	;; [unrolled: 2-line block ×5, first 2 shown]
	v_add_f64 v[116:117], v[116:117], v[142:143]
	global_store_dwordx4 v[70:71], v[40:43], off offset:1984
	global_store_dwordx4 v[72:73], v[48:51], off offset:1280
	;; [unrolled: 1-line block ×8, first 2 shown]
	global_store_dwordx4 v[68:69], v[56:59], off
	global_store_dwordx4 v[46:47], v[116:119], off offset:1152
	s_and_b32 exec_lo, exec_lo, vcc_lo
	s_cbranch_execz .LBB0_34
; %bb.33:
	v_subrev_nc_u32_e32 v4, 40, v134
	v_mov_b32_e32 v81, 0
	s_mov_b32 s1, 0x3fe82f19
	v_cndmask_b32_e64 v4, v4, v135, s0
	v_mov_b32_e32 v83, v81
	s_mov_b32 s0, s24
	v_mul_i32_i24_e32 v80, 10, v4
	v_lshlrev_b64 v[82:83], 4, v[82:83]
	v_lshlrev_b64 v[40:41], 4, v[80:81]
	v_add_nc_u32_e32 v80, 0x80, v134
	v_lshlrev_b64 v[84:85], 4, v[80:81]
	v_add_co_u32 v44, vcc_lo, s8, v40
	v_add_co_ci_u32_e32 v45, vcc_lo, s9, v41, vcc_lo
	v_add_nc_u32_e32 v80, 0xd4, v134
	v_add_co_u32 v82, vcc_lo, v98, v82
	s_clause 0x9
	global_load_dwordx4 v[40:43], v[44:45], off offset:1312
	global_load_dwordx4 v[60:63], v[44:45], off offset:1456
	;; [unrolled: 1-line block ×10, first 2 shown]
	v_add_co_ci_u32_e32 v83, vcc_lo, v99, v83, vcc_lo
	v_lshlrev_b64 v[86:87], 4, v[80:81]
	v_add_nc_u32_e32 v80, 0x128, v134
	v_add_co_u32 v84, vcc_lo, v98, v84
	v_add_co_ci_u32_e32 v85, vcc_lo, v99, v85, vcc_lo
	v_lshlrev_b64 v[92:93], 4, v[80:81]
	v_add_nc_u32_e32 v80, 0x17c, v134
	v_add_co_u32 v86, vcc_lo, v98, v86
	;; [unrolled: 4-line block ×4, first 2 shown]
	v_add_co_ci_u32_e32 v95, vcc_lo, v99, v95, vcc_lo
	v_lshlrev_b64 v[100:101], 4, v[80:81]
	v_add_co_u32 v96, vcc_lo, v98, v96
	v_add_co_ci_u32_e32 v97, vcc_lo, v99, v97, vcc_lo
	v_add_nc_u32_e32 v80, 0x278, v134
	v_lshlrev_b64 v[102:103], 4, v[80:81]
	v_add_nc_u32_e32 v80, 0x2cc, v134
	s_waitcnt vmcnt(9)
	v_mul_f64 v[104:105], v[245:246], v[42:43]
	s_waitcnt vmcnt(8)
	v_mul_f64 v[108:109], v[88:89], v[62:63]
	v_mul_f64 v[106:107], v[2:3], v[42:43]
	v_add_co_u32 v42, vcc_lo, v98, v100
	v_add_co_ci_u32_e32 v43, vcc_lo, v99, v101, vcc_lo
	s_waitcnt vmcnt(7)
	v_mul_f64 v[110:111], v[24:25], v[70:71]
	v_mul_f64 v[70:71], v[8:9], v[70:71]
	s_waitcnt vmcnt(6)
	v_mul_f64 v[112:113], v[26:27], v[66:67]
	s_waitcnt vmcnt(5)
	v_mul_f64 v[114:115], v[28:29], v[54:55]
	v_mul_f64 v[54:55], v[12:13], v[54:55]
	s_waitcnt vmcnt(4)
	v_mul_f64 v[116:117], v[22:23], v[78:79]
	;; [unrolled: 3-line block ×4, first 2 shown]
	v_mul_f64 v[46:47], v[16:17], v[46:47]
	v_mul_f64 v[66:67], v[10:11], v[66:67]
	;; [unrolled: 1-line block ×5, first 2 shown]
	v_fma_f64 v[100:101], v[2:3], v[40:41], v[104:105]
	v_fma_f64 v[2:3], v[90:91], v[60:61], -v[108:109]
	v_fma_f64 v[40:41], v[245:246], v[40:41], -v[106:107]
	v_mul_f64 v[118:119], v[34:35], v[58:59]
	v_mul_f64 v[58:59], v[18:19], v[58:59]
	buffer_store_dword v2, off, s[40:43], 0 ; 4-byte Folded Spill
	buffer_store_dword v3, off, s[40:43], 0 offset:4 ; 4-byte Folded Spill
	v_fma_f64 v[90:91], v[8:9], v[68:69], v[110:111]
	v_fma_f64 v[24:25], v[24:25], v[68:69], -v[70:71]
	v_fma_f64 v[68:69], v[10:11], v[64:65], v[112:113]
	v_fma_f64 v[10:11], v[38:39], v[76:77], -v[116:117]
	v_fma_f64 v[38:39], v[12:13], v[52:53], v[114:115]
	v_fma_f64 v[12:13], v[22:23], v[76:77], v[78:79]
	v_fma_f64 v[22:23], v[28:29], v[52:53], -v[54:55]
	v_fma_f64 v[28:29], v[36:37], v[72:73], -v[74:75]
	v_fma_f64 v[16:17], v[16:17], v[44:45], v[124:125]
	v_fma_f64 v[32:33], v[32:33], v[44:45], -v[46:47]
	v_add_f64 v[36:37], v[0:1], v[100:101]
	v_add_f64 v[44:45], v[243:244], v[40:41]
	v_fma_f64 v[6:7], v[88:89], v[60:61], v[62:63]
	v_fma_f64 v[26:27], v[26:27], v[64:65], -v[66:67]
	v_fma_f64 v[30:31], v[30:31], v[48:49], -v[50:51]
	v_fma_f64 v[20:21], v[20:21], v[72:73], v[120:121]
	v_fma_f64 v[18:19], v[18:19], v[56:57], v[118:119]
	v_fma_f64 v[34:35], v[34:35], v[56:57], -v[58:59]
	v_fma_f64 v[14:15], v[14:15], v[48:49], v[122:123]
	v_add_co_u32 v8, vcc_lo, v98, v102
	v_add_co_ci_u32_e32 v9, vcc_lo, v99, v103, vcc_lo
	v_add_f64 v[52:53], v[24:25], -v[10:11]
	v_add_f64 v[54:55], v[24:25], v[10:11]
	v_add_f64 v[56:57], v[90:91], v[12:13]
	v_add_f64 v[58:59], v[90:91], -v[12:13]
	v_add_f64 v[36:37], v[36:37], v[90:91]
	v_add_f64 v[24:25], v[44:45], v[24:25]
	;; [unrolled: 1-line block ×3, first 2 shown]
	v_add_f64 v[50:51], v[100:101], -v[6:7]
	v_add_f64 v[100:101], v[30:31], v[32:33]
	v_add_f64 v[60:61], v[68:69], v[20:21]
	v_add_f64 v[62:63], v[26:27], v[28:29]
	v_add_f64 v[64:65], v[68:69], -v[20:21]
	v_add_f64 v[66:67], v[26:27], -v[28:29]
	;; [unrolled: 1-line block ×3, first 2 shown]
	v_add_f64 v[74:75], v[22:23], v[34:35]
	v_add_f64 v[102:103], v[14:15], -v[16:17]
	v_add_f64 v[78:79], v[30:31], -v[32:33]
	v_add_f64 v[88:89], v[14:15], v[16:17]
	v_add_f64 v[70:71], v[38:39], v[18:19]
	v_mul_f64 v[116:117], v[52:53], s[30:31]
	v_mul_f64 v[118:119], v[54:55], s[22:23]
	;; [unrolled: 1-line block ×7, first 2 shown]
	v_add_f64 v[36:37], v[36:37], v[68:69]
	v_add_f64 v[24:25], v[24:25], v[26:27]
	v_mul_f64 v[130:131], v[54:55], s[6:7]
	v_mul_f64 v[52:53], v[52:53], s[18:19]
	;; [unrolled: 1-line block ×3, first 2 shown]
	v_add_f64 v[76:77], v[38:39], -v[18:19]
	v_mul_f64 v[135:136], v[62:63], s[6:7]
	v_mul_f64 v[139:140], v[62:63], s[12:13]
	;; [unrolled: 1-line block ×11, first 2 shown]
	v_fma_f64 v[193:194], v[56:57], s[28:29], v[120:121]
	v_fma_f64 v[195:196], v[58:59], s[0:1], v[122:123]
	v_fma_f64 v[120:121], v[56:57], s[28:29], -v[120:121]
	v_fma_f64 v[122:123], v[58:59], s[24:25], v[122:123]
	v_fma_f64 v[197:198], v[56:57], s[12:13], v[124:125]
	v_add_f64 v[36:37], v[36:37], v[38:39]
	v_add_f64 v[22:23], v[24:25], v[22:23]
	v_mul_f64 v[24:25], v[100:101], s[22:23]
	v_fma_f64 v[199:200], v[58:59], s[10:11], v[126:127]
	v_fma_f64 v[124:125], v[56:57], s[12:13], -v[124:125]
	v_fma_f64 v[126:127], v[58:59], s[34:35], v[126:127]
	v_fma_f64 v[201:202], v[56:57], s[6:7], v[128:129]
	;; [unrolled: 1-line block ×3, first 2 shown]
	v_fma_f64 v[128:129], v[56:57], s[6:7], -v[128:129]
	v_fma_f64 v[205:206], v[56:57], s[26:27], v[52:53]
	v_mul_f64 v[151:152], v[72:73], s[36:37]
	v_mul_f64 v[153:154], v[72:73], s[20:21]
	;; [unrolled: 1-line block ×8, first 2 shown]
	v_fma_f64 v[130:131], v[58:59], s[36:37], v[130:131]
	v_fma_f64 v[207:208], v[58:59], s[20:21], v[54:55]
	v_fma_f64 v[52:53], v[56:57], s[26:27], -v[52:53]
	v_fma_f64 v[54:55], v[58:59], s[18:19], v[54:55]
	v_add_f64 v[14:15], v[36:37], v[14:15]
	v_add_f64 v[22:23], v[22:23], v[30:31]
	v_fma_f64 v[249:250], v[102:103], s[30:31], v[24:25]
	v_fma_f64 v[251:252], v[102:103], s[16:17], v[24:25]
	;; [unrolled: 1-line block ×4, first 2 shown]
	v_fma_f64 v[137:138], v[60:61], s[12:13], -v[137:138]
	v_fma_f64 v[139:140], v[64:65], s[34:35], v[139:140]
	v_fma_f64 v[213:214], v[60:61], s[22:23], v[141:142]
	;; [unrolled: 1-line block ×3, first 2 shown]
	v_fma_f64 v[141:142], v[60:61], s[22:23], -v[141:142]
	v_fma_f64 v[143:144], v[64:65], s[16:17], v[143:144]
	v_fma_f64 v[219:220], v[64:65], s[18:19], v[147:148]
	;; [unrolled: 1-line block ×3, first 2 shown]
	v_mul_f64 v[74:75], v[74:75], s[22:23]
	v_mul_f64 v[165:166], v[78:79], s[10:11]
	;; [unrolled: 1-line block ×6, first 2 shown]
	v_fma_f64 v[217:218], v[60:61], s[26:27], v[145:146]
	v_fma_f64 v[145:146], v[60:61], s[26:27], -v[145:146]
	v_add_f64 v[14:15], v[14:15], v[16:17]
	v_add_f64 v[16:17], v[22:23], v[32:33]
	v_fma_f64 v[147:148], v[64:65], s[20:21], v[147:148]
	v_fma_f64 v[223:224], v[70:71], s[6:7], v[151:152]
	v_fma_f64 v[151:152], v[70:71], s[6:7], -v[151:152]
	v_fma_f64 v[225:226], v[70:71], s[26:27], v[153:154]
	v_fma_f64 v[153:154], v[70:71], s[26:27], -v[153:154]
	;; [unrolled: 2-line block ×3, first 2 shown]
	v_fma_f64 v[229:230], v[70:71], s[22:23], v[72:73]
	v_fma_f64 v[231:232], v[76:77], s[4:5], v[159:160]
	;; [unrolled: 1-line block ×10, first 2 shown]
	v_fma_f64 v[167:168], v[88:89], s[26:27], -v[167:168]
	v_fma_f64 v[241:242], v[88:89], s[28:29], v[169:170]
	v_fma_f64 v[169:170], v[88:89], s[28:29], -v[169:170]
	v_add_f64 v[14:15], v[14:15], v[18:19]
	v_add_f64 v[16:17], v[16:17], v[34:35]
	v_mul_f64 v[173:174], v[100:101], s[12:13]
	v_mul_f64 v[175:176], v[100:101], s[26:27]
	v_fma_f64 v[245:246], v[88:89], s[22:23], v[171:172]
	v_fma_f64 v[171:172], v[88:89], s[22:23], -v[171:172]
	v_add_f64 v[14:15], v[14:15], v[20:21]
	v_add_f64 v[16:17], v[16:17], v[28:29]
	v_fma_f64 v[38:39], v[102:103], s[34:35], v[173:174]
	v_fma_f64 v[173:174], v[102:103], s[10:11], v[173:174]
	v_add_f64 v[46:47], v[40:41], -v[2:3]
	v_add_f64 v[40:41], v[40:41], v[2:3]
	v_fma_f64 v[2:3], v[88:89], s[6:7], v[78:79]
	v_fma_f64 v[78:79], v[88:89], s[6:7], -v[78:79]
	v_mul_f64 v[44:45], v[46:47], s[20:21]
	v_mul_f64 v[90:91], v[40:41], s[26:27]
	v_mul_f64 v[104:105], v[46:47], s[30:31]
	v_mul_f64 v[106:107], v[40:41], s[22:23]
	v_mul_f64 v[108:109], v[46:47], s[4:5]
	v_mul_f64 v[110:111], v[40:41], s[6:7]
	v_mul_f64 v[112:113], v[46:47], s[24:25]
	v_mul_f64 v[114:115], v[40:41], s[28:29]
	v_mul_f64 v[46:47], v[46:47], s[10:11]
	v_mul_f64 v[40:41], v[40:41], s[12:13]
	v_fma_f64 v[26:27], v[48:49], s[26:27], v[44:45]
	v_fma_f64 v[68:69], v[50:51], s[18:19], v[90:91]
	v_fma_f64 v[44:45], v[48:49], s[26:27], -v[44:45]
	v_fma_f64 v[90:91], v[50:51], s[20:21], v[90:91]
	v_fma_f64 v[177:178], v[48:49], s[22:23], v[104:105]
	v_fma_f64 v[179:180], v[50:51], s[16:17], v[106:107]
	v_fma_f64 v[104:105], v[48:49], s[22:23], -v[104:105]
	v_fma_f64 v[106:107], v[50:51], s[30:31], v[106:107]
	;; [unrolled: 4-line block ×6, first 2 shown]
	v_add_f64 v[26:27], v[0:1], v[26:27]
	v_add_f64 v[44:45], v[0:1], v[44:45]
	;; [unrolled: 1-line block ×15, first 2 shown]
	v_fma_f64 v[56:57], v[60:61], s[6:7], v[132:133]
	v_fma_f64 v[58:59], v[64:65], s[36:37], v[135:136]
	v_fma_f64 v[132:133], v[60:61], s[6:7], -v[132:133]
	v_fma_f64 v[135:136], v[64:65], s[4:5], v[135:136]
	v_add_f64 v[40:41], v[243:244], v[40:41]
	v_fma_f64 v[60:61], v[60:61], s[28:29], -v[66:67]
	v_fma_f64 v[66:67], v[64:65], s[0:1], v[62:63]
	v_add_f64 v[22:23], v[48:49], v[26:27]
	v_add_f64 v[26:27], v[116:117], v[44:45]
	;; [unrolled: 1-line block ×8, first 2 shown]
	v_fma_f64 v[62:63], v[64:65], s[24:25], v[62:63]
	v_add_f64 v[48:49], v[122:123], v[68:69]
	v_add_f64 v[68:69], v[199:200], v[90:91]
	;; [unrolled: 1-line block ×4, first 2 shown]
	v_fma_f64 v[64:65], v[70:71], s[28:29], v[149:150]
	v_add_f64 v[108:109], v[203:204], v[110:111]
	v_add_f64 v[110:111], v[128:129], v[112:113]
	;; [unrolled: 1-line block ×3, first 2 shown]
	v_fma_f64 v[149:150], v[70:71], s[28:29], -v[149:150]
	v_fma_f64 v[70:71], v[70:71], s[22:23], -v[72:73]
	v_fma_f64 v[72:73], v[76:77], s[0:1], v[157:158]
	v_fma_f64 v[157:158], v[76:77], s[24:25], v[157:158]
	v_add_f64 v[40:41], v[54:55], v[40:41]
	v_add_f64 v[18:19], v[56:57], v[22:23]
	v_fma_f64 v[76:77], v[88:89], s[12:13], v[165:166]
	v_fma_f64 v[165:166], v[88:89], s[12:13], -v[165:166]
	v_add_f64 v[22:23], v[58:59], v[24:25]
	v_add_f64 v[24:25], v[132:133], v[26:27]
	;; [unrolled: 1-line block ×17, first 2 shown]
	v_mul_f64 v[88:89], v[100:101], s[28:29]
	v_add_f64 v[40:41], v[62:63], v[40:41]
	v_add_f64 v[62:63], v[14:15], v[12:13]
	v_mul_f64 v[100:101], v[100:101], s[6:7]
	v_add_f64 v[68:69], v[145:146], v[110:111]
	v_add_f64 v[20:21], v[72:73], v[22:23]
	;; [unrolled: 1-line block ×19, first 2 shown]
	v_fma_f64 v[46:47], v[102:103], s[20:21], v[175:176]
	v_fma_f64 v[247:248], v[102:103], s[0:1], v[88:89]
	;; [unrolled: 1-line block ×5, first 2 shown]
	v_add_f64 v[14:15], v[165:166], v[22:23]
	v_fma_f64 v[100:101], v[102:103], s[4:5], v[100:101]
	v_add_f64 v[40:41], v[74:75], v[40:41]
	v_add_f64 v[64:65], v[16:17], v[10:11]
	v_add_f64 v[22:23], v[167:168], v[30:31]
	v_add_f64 v[12:13], v[38:39], v[20:21]
	v_lshlrev_b64 v[102:103], 4, v[80:81]
	v_add_nc_u32_e32 v80, 0x320, v134
	v_add_f64 v[30:31], v[169:170], v[44:45]
	v_add_f64 v[16:17], v[173:174], v[24:25]
	v_add_f64 v[56:57], v[217:218], v[106:107]
	v_add_f64 v[44:45], v[2:3], v[58:59]
	s_clause 0x1
	buffer_load_dword v2, off, s[40:43], 0
	buffer_load_dword v3, off, s[40:43], 0 offset:4
	v_add_f64 v[66:67], v[66:67], v[116:117]
	v_add_f64 v[0:1], v[60:61], v[0:1]
	;; [unrolled: 1-line block ×11, first 2 shown]
	v_lshlrev_b64 v[4:5], 4, v[80:81]
	v_add_nc_u32_e32 v80, 0x374, v134
	v_add_f64 v[50:51], v[227:228], v[56:57]
	v_add_f64 v[56:57], v[155:156], v[68:69]
	;; [unrolled: 1-line block ×12, first 2 shown]
	v_add_co_u32 v6, vcc_lo, v98, v102
	v_lshlrev_b64 v[52:53], 4, v[80:81]
	v_add_co_ci_u32_e32 v7, vcc_lo, v99, v103, vcc_lo
	v_add_co_u32 v4, vcc_lo, v98, v4
	v_add_co_ci_u32_e32 v5, vcc_lo, v99, v5, vcc_lo
	v_add_co_u32 v52, vcc_lo, v98, v52
	v_add_co_ci_u32_e32 v53, vcc_lo, v99, v53, vcc_lo
	s_waitcnt vmcnt(0)
	v_add_f64 v[2:3], v[64:65], v[2:3]
	global_store_dwordx4 v[84:85], v[10:13], off
	global_store_dwordx4 v[86:87], v[18:21], off
	;; [unrolled: 1-line block ×11, first 2 shown]
.LBB0_34:
	s_endpgm
	.section	.rodata,"a",@progbits
	.p2align	6, 0x0
	.amdhsa_kernel fft_rtc_back_len924_factors_2_2_3_7_11_wgs_44_tpt_44_halfLds_dp_op_CI_CI_unitstride_sbrr_dirReg
		.amdhsa_group_segment_fixed_size 0
		.amdhsa_private_segment_fixed_size 12
		.amdhsa_kernarg_size 104
		.amdhsa_user_sgpr_count 6
		.amdhsa_user_sgpr_private_segment_buffer 1
		.amdhsa_user_sgpr_dispatch_ptr 0
		.amdhsa_user_sgpr_queue_ptr 0
		.amdhsa_user_sgpr_kernarg_segment_ptr 1
		.amdhsa_user_sgpr_dispatch_id 0
		.amdhsa_user_sgpr_flat_scratch_init 0
		.amdhsa_user_sgpr_private_segment_size 0
		.amdhsa_wavefront_size32 1
		.amdhsa_uses_dynamic_stack 0
		.amdhsa_system_sgpr_private_segment_wavefront_offset 1
		.amdhsa_system_sgpr_workgroup_id_x 1
		.amdhsa_system_sgpr_workgroup_id_y 0
		.amdhsa_system_sgpr_workgroup_id_z 0
		.amdhsa_system_sgpr_workgroup_info 0
		.amdhsa_system_vgpr_workitem_id 0
		.amdhsa_next_free_vgpr 255
		.amdhsa_next_free_sgpr 44
		.amdhsa_reserve_vcc 1
		.amdhsa_reserve_flat_scratch 0
		.amdhsa_float_round_mode_32 0
		.amdhsa_float_round_mode_16_64 0
		.amdhsa_float_denorm_mode_32 3
		.amdhsa_float_denorm_mode_16_64 3
		.amdhsa_dx10_clamp 1
		.amdhsa_ieee_mode 1
		.amdhsa_fp16_overflow 0
		.amdhsa_workgroup_processor_mode 1
		.amdhsa_memory_ordered 1
		.amdhsa_forward_progress 0
		.amdhsa_shared_vgpr_count 0
		.amdhsa_exception_fp_ieee_invalid_op 0
		.amdhsa_exception_fp_denorm_src 0
		.amdhsa_exception_fp_ieee_div_zero 0
		.amdhsa_exception_fp_ieee_overflow 0
		.amdhsa_exception_fp_ieee_underflow 0
		.amdhsa_exception_fp_ieee_inexact 0
		.amdhsa_exception_int_div_zero 0
	.end_amdhsa_kernel
	.text
.Lfunc_end0:
	.size	fft_rtc_back_len924_factors_2_2_3_7_11_wgs_44_tpt_44_halfLds_dp_op_CI_CI_unitstride_sbrr_dirReg, .Lfunc_end0-fft_rtc_back_len924_factors_2_2_3_7_11_wgs_44_tpt_44_halfLds_dp_op_CI_CI_unitstride_sbrr_dirReg
                                        ; -- End function
	.section	.AMDGPU.csdata,"",@progbits
; Kernel info:
; codeLenInByte = 16364
; NumSgprs: 46
; NumVgprs: 255
; ScratchSize: 12
; MemoryBound: 1
; FloatMode: 240
; IeeeMode: 1
; LDSByteSize: 0 bytes/workgroup (compile time only)
; SGPRBlocks: 5
; VGPRBlocks: 31
; NumSGPRsForWavesPerEU: 46
; NumVGPRsForWavesPerEU: 255
; Occupancy: 4
; WaveLimiterHint : 1
; COMPUTE_PGM_RSRC2:SCRATCH_EN: 1
; COMPUTE_PGM_RSRC2:USER_SGPR: 6
; COMPUTE_PGM_RSRC2:TRAP_HANDLER: 0
; COMPUTE_PGM_RSRC2:TGID_X_EN: 1
; COMPUTE_PGM_RSRC2:TGID_Y_EN: 0
; COMPUTE_PGM_RSRC2:TGID_Z_EN: 0
; COMPUTE_PGM_RSRC2:TIDIG_COMP_CNT: 0
	.text
	.p2alignl 6, 3214868480
	.fill 48, 4, 3214868480
	.type	__hip_cuid_8cb5429e53ad4ad,@object ; @__hip_cuid_8cb5429e53ad4ad
	.section	.bss,"aw",@nobits
	.globl	__hip_cuid_8cb5429e53ad4ad
__hip_cuid_8cb5429e53ad4ad:
	.byte	0                               ; 0x0
	.size	__hip_cuid_8cb5429e53ad4ad, 1

	.ident	"AMD clang version 19.0.0git (https://github.com/RadeonOpenCompute/llvm-project roc-6.4.0 25133 c7fe45cf4b819c5991fe208aaa96edf142730f1d)"
	.section	".note.GNU-stack","",@progbits
	.addrsig
	.addrsig_sym __hip_cuid_8cb5429e53ad4ad
	.amdgpu_metadata
---
amdhsa.kernels:
  - .args:
      - .actual_access:  read_only
        .address_space:  global
        .offset:         0
        .size:           8
        .value_kind:     global_buffer
      - .offset:         8
        .size:           8
        .value_kind:     by_value
      - .actual_access:  read_only
        .address_space:  global
        .offset:         16
        .size:           8
        .value_kind:     global_buffer
      - .actual_access:  read_only
        .address_space:  global
        .offset:         24
        .size:           8
        .value_kind:     global_buffer
      - .actual_access:  read_only
        .address_space:  global
        .offset:         32
        .size:           8
        .value_kind:     global_buffer
      - .offset:         40
        .size:           8
        .value_kind:     by_value
      - .actual_access:  read_only
        .address_space:  global
        .offset:         48
        .size:           8
        .value_kind:     global_buffer
      - .actual_access:  read_only
        .address_space:  global
        .offset:         56
        .size:           8
        .value_kind:     global_buffer
      - .offset:         64
        .size:           4
        .value_kind:     by_value
      - .actual_access:  read_only
        .address_space:  global
        .offset:         72
        .size:           8
        .value_kind:     global_buffer
      - .actual_access:  read_only
        .address_space:  global
        .offset:         80
        .size:           8
        .value_kind:     global_buffer
      - .actual_access:  read_only
        .address_space:  global
        .offset:         88
        .size:           8
        .value_kind:     global_buffer
      - .actual_access:  write_only
        .address_space:  global
        .offset:         96
        .size:           8
        .value_kind:     global_buffer
    .group_segment_fixed_size: 0
    .kernarg_segment_align: 8
    .kernarg_segment_size: 104
    .language:       OpenCL C
    .language_version:
      - 2
      - 0
    .max_flat_workgroup_size: 44
    .name:           fft_rtc_back_len924_factors_2_2_3_7_11_wgs_44_tpt_44_halfLds_dp_op_CI_CI_unitstride_sbrr_dirReg
    .private_segment_fixed_size: 12
    .sgpr_count:     46
    .sgpr_spill_count: 0
    .symbol:         fft_rtc_back_len924_factors_2_2_3_7_11_wgs_44_tpt_44_halfLds_dp_op_CI_CI_unitstride_sbrr_dirReg.kd
    .uniform_work_group_size: 1
    .uses_dynamic_stack: false
    .vgpr_count:     255
    .vgpr_spill_count: 2
    .wavefront_size: 32
    .workgroup_processor_mode: 1
amdhsa.target:   amdgcn-amd-amdhsa--gfx1030
amdhsa.version:
  - 1
  - 2
...

	.end_amdgpu_metadata
